;; amdgpu-corpus repo=ROCm/rocFFT kind=compiled arch=gfx1030 opt=O3
	.text
	.amdgcn_target "amdgcn-amd-amdhsa--gfx1030"
	.amdhsa_code_object_version 6
	.protected	fft_rtc_back_len1105_factors_17_13_5_wgs_255_tpt_85_halfLds_dp_ip_CI_sbrr_dirReg ; -- Begin function fft_rtc_back_len1105_factors_17_13_5_wgs_255_tpt_85_halfLds_dp_ip_CI_sbrr_dirReg
	.globl	fft_rtc_back_len1105_factors_17_13_5_wgs_255_tpt_85_halfLds_dp_ip_CI_sbrr_dirReg
	.p2align	8
	.type	fft_rtc_back_len1105_factors_17_13_5_wgs_255_tpt_85_halfLds_dp_ip_CI_sbrr_dirReg,@function
fft_rtc_back_len1105_factors_17_13_5_wgs_255_tpt_85_halfLds_dp_ip_CI_sbrr_dirReg: ; @fft_rtc_back_len1105_factors_17_13_5_wgs_255_tpt_85_halfLds_dp_ip_CI_sbrr_dirReg
; %bb.0:
	s_clause 0x1
	s_load_dwordx2 s[14:15], s[4:5], 0x18
	s_load_dwordx4 s[8:11], s[4:5], 0x0
	v_mul_u32_u24_e32 v1, 0x304, v0
	v_mov_b32_e32 v5, 0
	v_mov_b32_e32 v3, 0
	v_mov_b32_e32 v4, 0
	s_load_dwordx2 s[12:13], s[4:5], 0x50
	s_waitcnt lgkmcnt(0)
	s_load_dwordx2 s[2:3], s[14:15], 0x0
	v_lshrrev_b32_e32 v1, 16, v1
	v_cmp_lt_u64_e64 s0, s[10:11], 2
	v_mad_u64_u32 v[1:2], null, s6, 3, v[1:2]
	v_mov_b32_e32 v2, v5
	s_and_b32 vcc_lo, exec_lo, s0
	v_mov_b32_e32 v10, v2
	v_mov_b32_e32 v9, v1
	s_cbranch_vccnz .LBB0_8
; %bb.1:
	s_load_dwordx2 s[0:1], s[4:5], 0x10
	v_mov_b32_e32 v3, 0
	v_mov_b32_e32 v8, v2
	s_add_u32 s6, s14, 8
	v_mov_b32_e32 v4, 0
	v_mov_b32_e32 v7, v1
	s_addc_u32 s7, s15, 0
	s_mov_b64 s[18:19], 1
	s_waitcnt lgkmcnt(0)
	s_add_u32 s16, s0, 8
	s_addc_u32 s17, s1, 0
.LBB0_2:                                ; =>This Inner Loop Header: Depth=1
	s_load_dwordx2 s[20:21], s[16:17], 0x0
                                        ; implicit-def: $vgpr9_vgpr10
	s_mov_b32 s0, exec_lo
	s_waitcnt lgkmcnt(0)
	v_or_b32_e32 v6, s21, v8
	v_cmpx_ne_u64_e32 0, v[5:6]
	s_xor_b32 s1, exec_lo, s0
	s_cbranch_execz .LBB0_4
; %bb.3:                                ;   in Loop: Header=BB0_2 Depth=1
	v_cvt_f32_u32_e32 v2, s20
	v_cvt_f32_u32_e32 v6, s21
	s_sub_u32 s0, 0, s20
	s_subb_u32 s22, 0, s21
	v_fmac_f32_e32 v2, 0x4f800000, v6
	v_rcp_f32_e32 v2, v2
	v_mul_f32_e32 v2, 0x5f7ffffc, v2
	v_mul_f32_e32 v6, 0x2f800000, v2
	v_trunc_f32_e32 v6, v6
	v_fmac_f32_e32 v2, 0xcf800000, v6
	v_cvt_u32_f32_e32 v6, v6
	v_cvt_u32_f32_e32 v2, v2
	v_mul_lo_u32 v9, s0, v6
	v_mul_hi_u32 v10, s0, v2
	v_mul_lo_u32 v11, s22, v2
	v_add_nc_u32_e32 v9, v10, v9
	v_mul_lo_u32 v10, s0, v2
	v_add_nc_u32_e32 v9, v9, v11
	v_mul_hi_u32 v11, v2, v10
	v_mul_lo_u32 v12, v2, v9
	v_mul_hi_u32 v13, v2, v9
	v_mul_hi_u32 v14, v6, v10
	v_mul_lo_u32 v10, v6, v10
	v_mul_hi_u32 v15, v6, v9
	v_mul_lo_u32 v9, v6, v9
	v_add_co_u32 v11, vcc_lo, v11, v12
	v_add_co_ci_u32_e32 v12, vcc_lo, 0, v13, vcc_lo
	v_add_co_u32 v10, vcc_lo, v11, v10
	v_add_co_ci_u32_e32 v10, vcc_lo, v12, v14, vcc_lo
	v_add_co_ci_u32_e32 v11, vcc_lo, 0, v15, vcc_lo
	v_add_co_u32 v9, vcc_lo, v10, v9
	v_add_co_ci_u32_e32 v10, vcc_lo, 0, v11, vcc_lo
	v_add_co_u32 v2, vcc_lo, v2, v9
	v_add_co_ci_u32_e32 v6, vcc_lo, v6, v10, vcc_lo
	v_mul_hi_u32 v9, s0, v2
	v_mul_lo_u32 v11, s22, v2
	v_mul_lo_u32 v10, s0, v6
	v_add_nc_u32_e32 v9, v9, v10
	v_mul_lo_u32 v10, s0, v2
	v_add_nc_u32_e32 v9, v9, v11
	v_mul_hi_u32 v11, v2, v10
	v_mul_lo_u32 v12, v2, v9
	v_mul_hi_u32 v13, v2, v9
	v_mul_hi_u32 v14, v6, v10
	v_mul_lo_u32 v10, v6, v10
	v_mul_hi_u32 v15, v6, v9
	v_mul_lo_u32 v9, v6, v9
	v_add_co_u32 v11, vcc_lo, v11, v12
	v_add_co_ci_u32_e32 v12, vcc_lo, 0, v13, vcc_lo
	v_add_co_u32 v10, vcc_lo, v11, v10
	v_add_co_ci_u32_e32 v10, vcc_lo, v12, v14, vcc_lo
	v_add_co_ci_u32_e32 v11, vcc_lo, 0, v15, vcc_lo
	v_add_co_u32 v9, vcc_lo, v10, v9
	v_add_co_ci_u32_e32 v10, vcc_lo, 0, v11, vcc_lo
	v_add_co_u32 v2, vcc_lo, v2, v9
	v_add_co_ci_u32_e32 v6, vcc_lo, v6, v10, vcc_lo
	v_mul_hi_u32 v15, v7, v2
	v_mad_u64_u32 v[11:12], null, v8, v2, 0
	v_mad_u64_u32 v[9:10], null, v7, v6, 0
	v_mad_u64_u32 v[13:14], null, v8, v6, 0
	v_add_co_u32 v2, vcc_lo, v15, v9
	v_add_co_ci_u32_e32 v6, vcc_lo, 0, v10, vcc_lo
	v_add_co_u32 v2, vcc_lo, v2, v11
	v_add_co_ci_u32_e32 v2, vcc_lo, v6, v12, vcc_lo
	v_add_co_ci_u32_e32 v6, vcc_lo, 0, v14, vcc_lo
	v_add_co_u32 v2, vcc_lo, v2, v13
	v_add_co_ci_u32_e32 v6, vcc_lo, 0, v6, vcc_lo
	v_mul_lo_u32 v11, s21, v2
	v_mad_u64_u32 v[9:10], null, s20, v2, 0
	v_mul_lo_u32 v12, s20, v6
	v_sub_co_u32 v9, vcc_lo, v7, v9
	v_add3_u32 v10, v10, v12, v11
	v_sub_nc_u32_e32 v11, v8, v10
	v_subrev_co_ci_u32_e64 v11, s0, s21, v11, vcc_lo
	v_add_co_u32 v12, s0, v2, 2
	v_add_co_ci_u32_e64 v13, s0, 0, v6, s0
	v_sub_co_u32 v14, s0, v9, s20
	v_sub_co_ci_u32_e32 v10, vcc_lo, v8, v10, vcc_lo
	v_subrev_co_ci_u32_e64 v11, s0, 0, v11, s0
	v_cmp_le_u32_e32 vcc_lo, s20, v14
	v_cmp_eq_u32_e64 s0, s21, v10
	v_cndmask_b32_e64 v14, 0, -1, vcc_lo
	v_cmp_le_u32_e32 vcc_lo, s21, v11
	v_cndmask_b32_e64 v15, 0, -1, vcc_lo
	v_cmp_le_u32_e32 vcc_lo, s20, v9
	;; [unrolled: 2-line block ×3, first 2 shown]
	v_cndmask_b32_e64 v16, 0, -1, vcc_lo
	v_cmp_eq_u32_e32 vcc_lo, s21, v11
	v_cndmask_b32_e64 v9, v16, v9, s0
	v_cndmask_b32_e32 v11, v15, v14, vcc_lo
	v_add_co_u32 v14, vcc_lo, v2, 1
	v_add_co_ci_u32_e32 v15, vcc_lo, 0, v6, vcc_lo
	v_cmp_ne_u32_e32 vcc_lo, 0, v11
	v_cndmask_b32_e32 v10, v15, v13, vcc_lo
	v_cndmask_b32_e32 v11, v14, v12, vcc_lo
	v_cmp_ne_u32_e32 vcc_lo, 0, v9
	v_cndmask_b32_e32 v10, v6, v10, vcc_lo
	v_cndmask_b32_e32 v9, v2, v11, vcc_lo
.LBB0_4:                                ;   in Loop: Header=BB0_2 Depth=1
	s_andn2_saveexec_b32 s0, s1
	s_cbranch_execz .LBB0_6
; %bb.5:                                ;   in Loop: Header=BB0_2 Depth=1
	v_cvt_f32_u32_e32 v2, s20
	s_sub_i32 s1, 0, s20
	v_rcp_iflag_f32_e32 v2, v2
	v_mul_f32_e32 v2, 0x4f7ffffe, v2
	v_cvt_u32_f32_e32 v2, v2
	v_mul_lo_u32 v6, s1, v2
	v_mul_hi_u32 v6, v2, v6
	v_add_nc_u32_e32 v2, v2, v6
	v_mul_hi_u32 v2, v7, v2
	v_mul_lo_u32 v6, v2, s20
	v_add_nc_u32_e32 v9, 1, v2
	v_sub_nc_u32_e32 v6, v7, v6
	v_subrev_nc_u32_e32 v10, s20, v6
	v_cmp_le_u32_e32 vcc_lo, s20, v6
	v_cndmask_b32_e32 v6, v6, v10, vcc_lo
	v_cndmask_b32_e32 v2, v2, v9, vcc_lo
	v_mov_b32_e32 v10, v5
	v_cmp_le_u32_e32 vcc_lo, s20, v6
	v_add_nc_u32_e32 v9, 1, v2
	v_cndmask_b32_e32 v9, v2, v9, vcc_lo
.LBB0_6:                                ;   in Loop: Header=BB0_2 Depth=1
	s_or_b32 exec_lo, exec_lo, s0
	s_load_dwordx2 s[0:1], s[6:7], 0x0
	v_mul_lo_u32 v2, v10, s20
	v_mul_lo_u32 v6, v9, s21
	v_mad_u64_u32 v[11:12], null, v9, s20, 0
	s_add_u32 s18, s18, 1
	s_addc_u32 s19, s19, 0
	s_add_u32 s6, s6, 8
	s_addc_u32 s7, s7, 0
	s_add_u32 s16, s16, 8
	s_addc_u32 s17, s17, 0
	v_add3_u32 v2, v12, v6, v2
	v_sub_co_u32 v6, vcc_lo, v7, v11
	v_sub_co_ci_u32_e32 v2, vcc_lo, v8, v2, vcc_lo
	s_waitcnt lgkmcnt(0)
	v_mul_lo_u32 v7, s1, v6
	v_mul_lo_u32 v2, s0, v2
	v_mad_u64_u32 v[3:4], null, s0, v6, v[3:4]
	v_cmp_ge_u64_e64 s0, s[18:19], s[10:11]
	s_and_b32 vcc_lo, exec_lo, s0
	v_add3_u32 v4, v7, v4, v2
	s_cbranch_vccnz .LBB0_8
; %bb.7:                                ;   in Loop: Header=BB0_2 Depth=1
	v_mov_b32_e32 v7, v9
	v_mov_b32_e32 v8, v10
	s_branch .LBB0_2
.LBB0_8:
	s_lshl_b64 s[0:1], s[10:11], 3
	v_mul_hi_u32 v5, 0x3030304, v0
	s_add_u32 s0, s14, s0
	s_addc_u32 s1, s15, s1
                                        ; implicit-def: $vgpr12_vgpr13
                                        ; implicit-def: $vgpr16_vgpr17
                                        ; implicit-def: $vgpr20_vgpr21
                                        ; implicit-def: $vgpr24_vgpr25
                                        ; implicit-def: $vgpr28_vgpr29
                                        ; implicit-def: $vgpr32_vgpr33
                                        ; implicit-def: $vgpr36_vgpr37
                                        ; implicit-def: $vgpr40_vgpr41
                                        ; implicit-def: $vgpr44_vgpr45
                                        ; implicit-def: $vgpr48_vgpr49
                                        ; implicit-def: $vgpr52_vgpr53
                                        ; implicit-def: $vgpr56_vgpr57
                                        ; implicit-def: $vgpr68_vgpr69
                                        ; implicit-def: $vgpr60_vgpr61
                                        ; implicit-def: $vgpr64_vgpr65
                                        ; implicit-def: $vgpr72_vgpr73
	s_load_dwordx2 s[0:1], s[0:1], 0x0
	s_load_dwordx2 s[4:5], s[4:5], 0x20
	s_waitcnt lgkmcnt(0)
	v_mul_lo_u32 v6, s0, v10
	v_mul_lo_u32 v7, s1, v9
	v_mad_u64_u32 v[2:3], null, s0, v9, v[3:4]
	v_mul_u32_u24_e32 v4, 0x55, v5
	v_cmp_gt_u64_e32 vcc_lo, s[4:5], v[9:10]
                                        ; implicit-def: $vgpr8_vgpr9
	v_sub_nc_u32_e32 v162, v0, v4
	v_add3_u32 v3, v7, v3, v6
	v_cmp_gt_u32_e64 s0, 0x41, v162
	v_lshlrev_b64 v[98:99], 4, v[2:3]
	s_and_b32 s1, vcc_lo, s0
	s_and_saveexec_b32 s4, s1
	s_cbranch_execz .LBB0_10
; %bb.9:
	v_add_nc_u32_e32 v12, 0x41, v162
	v_mad_u64_u32 v[2:3], null, s2, v162, 0
	v_add_nc_u32_e32 v13, 0x82, v162
	v_add_nc_u32_e32 v14, 0xc3, v162
	v_mad_u64_u32 v[4:5], null, s2, v12, 0
	v_add_nc_u32_e32 v15, 0x104, v162
	v_mad_u64_u32 v[6:7], null, s2, v13, 0
	v_mov_b32_e32 v0, v3
	v_mad_u64_u32 v[8:9], null, s2, v14, 0
	v_mov_b32_e32 v3, v5
	v_add_co_u32 v35, s1, s12, v98
	v_mad_u64_u32 v[10:11], null, s3, v162, v[0:1]
	v_mad_u64_u32 v[11:12], null, s3, v12, v[3:4]
	v_mov_b32_e32 v0, v7
	v_mov_b32_e32 v7, v9
	v_add_co_ci_u32_e64 v36, s1, s13, v99, s1
	v_mov_b32_e32 v3, v10
	v_mad_u64_u32 v[9:10], null, s3, v13, v[0:1]
	v_mov_b32_e32 v5, v11
	v_mad_u64_u32 v[10:11], null, s3, v14, v[7:8]
	v_mad_u64_u32 v[11:12], null, s2, v15, 0
	v_lshlrev_b64 v[2:3], 4, v[2:3]
	v_mov_b32_e32 v7, v9
	v_lshlrev_b64 v[4:5], 4, v[4:5]
	v_add_nc_u32_e32 v23, 0x186, v162
	v_mov_b32_e32 v9, v10
	v_add_nc_u32_e32 v10, 0x145, v162
	v_mov_b32_e32 v0, v12
	v_add_co_u32 v2, s1, v35, v2
	v_lshlrev_b64 v[6:7], 4, v[6:7]
	v_add_co_ci_u32_e64 v3, s1, v36, v3, s1
	v_mad_u64_u32 v[12:13], null, s3, v15, v[0:1]
	v_mad_u64_u32 v[13:14], null, s2, v10, 0
	v_add_co_u32 v4, s1, v35, v4
	v_lshlrev_b64 v[8:9], 4, v[8:9]
	v_add_co_ci_u32_e64 v5, s1, v36, v5, s1
	v_add_co_u32 v15, s1, v35, v6
	v_add_co_ci_u32_e64 v16, s1, v36, v7, s1
	v_mov_b32_e32 v0, v14
	v_add_co_u32 v17, s1, v35, v8
	v_mad_u64_u32 v[19:20], null, s2, v23, 0
	v_add_co_ci_u32_e64 v18, s1, v36, v9, s1
	v_mad_u64_u32 v[21:22], null, s3, v10, v[0:1]
	s_clause 0x3
	global_load_dwordx4 v[6:9], v[2:3], off
	global_load_dwordx4 v[70:73], v[4:5], off
	;; [unrolled: 1-line block ×4, first 2 shown]
	v_add_nc_u32_e32 v15, 0x1c7, v162
	v_mov_b32_e32 v0, v20
	v_add_nc_u32_e32 v18, 0x208, v162
	v_lshlrev_b64 v[2:3], 4, v[11:12]
	v_add_nc_u32_e32 v27, 0x2cb, v162
	v_mad_u64_u32 v[4:5], null, s2, v15, 0
	v_mov_b32_e32 v14, v21
	v_mad_u64_u32 v[10:11], null, s3, v23, v[0:1]
	v_add_co_u32 v2, s1, v35, v2
	v_lshlrev_b64 v[11:12], 4, v[13:14]
	v_mov_b32_e32 v0, v5
	v_mad_u64_u32 v[13:14], null, s2, v18, 0
	v_mov_b32_e32 v20, v10
	v_add_co_ci_u32_e64 v3, s1, v36, v3, s1
	v_mad_u64_u32 v[15:16], null, s3, v15, v[0:1]
	v_add_co_u32 v10, s1, v35, v11
	v_add_co_ci_u32_e64 v11, s1, v36, v12, s1
	v_mov_b32_e32 v0, v14
	v_add_nc_u32_e32 v12, 0x249, v162
	v_lshlrev_b64 v[16:17], 4, v[19:20]
	v_mov_b32_e32 v5, v15
	v_add_nc_u32_e32 v31, 0x34d, v162
	v_mad_u64_u32 v[14:15], null, s3, v18, v[0:1]
	v_mad_u64_u32 v[18:19], null, s2, v12, 0
	v_add_co_u32 v15, s1, v35, v16
	v_add_co_ci_u32_e64 v16, s1, v36, v17, s1
	v_add_nc_u32_e32 v17, 0x28a, v162
	v_lshlrev_b64 v[4:5], 4, v[4:5]
	v_mov_b32_e32 v0, v19
	v_add_nc_u32_e32 v32, 0x38e, v162
	v_add_nc_u32_e32 v37, 0x3cf, v162
	v_mad_u64_u32 v[20:21], null, s2, v17, 0
	v_mad_u64_u32 v[22:23], null, s3, v12, v[0:1]
	;; [unrolled: 1-line block ×3, first 2 shown]
	v_lshlrev_b64 v[12:13], 4, v[13:14]
	v_add_nc_u32_e32 v14, 0x30c, v162
	v_mov_b32_e32 v0, v21
	v_add_co_u32 v4, s1, v35, v4
	v_mov_b32_e32 v19, v22
	v_mad_u64_u32 v[25:26], null, s2, v14, 0
	v_mad_u64_u32 v[21:22], null, s3, v17, v[0:1]
	v_mov_b32_e32 v0, v24
	v_lshlrev_b64 v[17:18], 4, v[18:19]
	v_mad_u64_u32 v[29:30], null, s2, v32, 0
	v_add_co_ci_u32_e64 v5, s1, v36, v5, s1
	v_mad_u64_u32 v[27:28], null, s3, v27, v[0:1]
	v_mov_b32_e32 v0, v26
	v_lshlrev_b64 v[19:20], 4, v[20:21]
	v_add_co_u32 v12, s1, v35, v12
	v_add_co_ci_u32_e64 v13, s1, v36, v13, s1
	v_mov_b32_e32 v24, v27
	v_mad_u64_u32 v[21:22], null, s3, v14, v[0:1]
	v_mad_u64_u32 v[27:28], null, s2, v31, 0
	v_add_co_u32 v17, s1, v35, v17
	v_lshlrev_b64 v[22:23], 4, v[23:24]
	v_add_co_ci_u32_e64 v18, s1, v36, v18, s1
	v_add_co_u32 v19, s1, v35, v19
	v_mov_b32_e32 v26, v21
	v_mov_b32_e32 v0, v28
	;; [unrolled: 1-line block ×3, first 2 shown]
	v_add_co_ci_u32_e64 v20, s1, v36, v20, s1
	v_add_co_u32 v21, s1, v35, v22
	v_add_co_ci_u32_e64 v22, s1, v36, v23, s1
	v_lshlrev_b64 v[23:24], 4, v[25:26]
	v_mad_u64_u32 v[25:26], null, s3, v31, v[0:1]
	v_mad_u64_u32 v[30:31], null, s3, v32, v[14:15]
	;; [unrolled: 1-line block ×3, first 2 shown]
	v_add_nc_u32_e32 v14, 0x410, v162
	s_clause 0x1
	global_load_dwordx4 v[66:69], v[2:3], off
	global_load_dwordx4 v[54:57], v[10:11], off
	v_mov_b32_e32 v28, v25
	s_clause 0x1
	global_load_dwordx4 v[50:53], v[15:16], off
	global_load_dwordx4 v[46:49], v[4:5], off
	v_add_co_u32 v23, s1, v35, v23
	v_mad_u64_u32 v[33:34], null, s2, v14, 0
	v_mov_b32_e32 v0, v32
	v_add_co_ci_u32_e64 v24, s1, v36, v24, s1
	s_clause 0x1
	global_load_dwordx4 v[42:45], v[12:13], off
	global_load_dwordx4 v[38:41], v[17:18], off
	v_mad_u64_u32 v[2:3], null, s3, v37, v[0:1]
	v_mov_b32_e32 v0, v34
	v_lshlrev_b64 v[3:4], 4, v[27:28]
	v_mad_u64_u32 v[10:11], null, s3, v14, v[0:1]
	v_lshlrev_b64 v[14:15], 4, v[29:30]
	v_mov_b32_e32 v32, v2
	v_add_co_u32 v2, s1, v35, v3
	v_add_co_ci_u32_e64 v3, s1, v36, v4, s1
	v_mov_b32_e32 v34, v10
	v_lshlrev_b64 v[4:5], 4, v[31:32]
	v_add_co_u32 v10, s1, v35, v14
	v_add_co_ci_u32_e64 v11, s1, v36, v15, s1
	v_lshlrev_b64 v[14:15], 4, v[33:34]
	v_add_co_u32 v4, s1, v35, v4
	v_add_co_ci_u32_e64 v5, s1, v36, v5, s1
	v_add_co_u32 v12, s1, v35, v14
	v_add_co_ci_u32_e64 v13, s1, v36, v15, s1
	s_clause 0x6
	global_load_dwordx4 v[34:37], v[19:20], off
	global_load_dwordx4 v[30:33], v[21:22], off
	;; [unrolled: 1-line block ×7, first 2 shown]
.LBB0_10:
	s_or_b32 exec_lo, exec_lo, s4
	s_waitcnt vmcnt(0)
	v_add_f64 v[4:5], v[72:73], -v[12:13]
	s_mov_b32 s20, 0x7c9e640b
	s_mov_b32 s24, 0xeb564b22
	;; [unrolled: 1-line block ×4, first 2 shown]
	v_add_f64 v[84:85], v[10:11], v[70:71]
	v_add_f64 v[74:75], v[64:65], -v[16:17]
	s_mov_b32 s6, 0x2b2883cd
	s_mov_b32 s28, 0x6c9a05f6
	;; [unrolled: 1-line block ×8, first 2 shown]
	v_add_f64 v[106:107], v[14:15], v[62:63]
	v_add_f64 v[88:89], v[60:61], -v[20:21]
	s_mov_b32 s14, 0x6ed5f1bb
	s_mov_b32 s16, 0x7faef3
	;; [unrolled: 1-line block ×5, first 2 shown]
	v_mul_f64 v[86:87], v[4:5], s[20:21]
	v_mul_f64 v[96:97], v[4:5], s[24:25]
	s_mov_b32 s37, 0x3fc7851a
	s_mov_b32 s35, 0x3feec746
	;; [unrolled: 1-line block ×3, first 2 shown]
	v_add_f64 v[116:117], v[18:19], v[58:59]
	v_mul_f64 v[92:93], v[74:75], s[28:29]
	v_mul_f64 v[114:115], v[74:75], s[38:39]
	v_add_f64 v[94:95], v[68:69], -v[24:25]
	s_mov_b32 s18, 0xc61f0d01
	s_mov_b32 s40, 0x5d8e7cdc
	;; [unrolled: 1-line block ×4, first 2 shown]
	v_add_f64 v[126:127], v[22:23], v[66:67]
	s_mov_b32 s22, 0x370991
	s_mov_b32 s30, 0x2a9d6da3
	v_mul_f64 v[108:109], v[88:89], s[36:37]
	v_mul_f64 v[124:125], v[88:89], s[34:35]
	s_mov_b32 s23, 0x3fedd6d0
	s_mov_b32 s31, 0x3fe58eea
	v_add_f64 v[112:113], v[26:27], v[54:55]
	s_mov_b32 s4, 0x75d4884
	v_fma_f64 v[2:3], v[84:85], s[6:7], -v[86:87]
	v_fma_f64 v[76:77], v[84:85], s[10:11], -v[96:97]
	s_mov_b32 s42, 0x4363dd80
	s_mov_b32 s5, 0x3fe7a5f6
	;; [unrolled: 1-line block ×4, first 2 shown]
	v_fma_f64 v[78:79], v[106:107], s[14:15], -v[92:93]
	v_fma_f64 v[80:81], v[106:107], s[16:17], -v[114:115]
	v_mul_f64 v[120:121], v[94:95], s[34:35]
	v_mul_f64 v[130:131], v[94:95], s[40:41]
	s_mov_b32 s44, s40
	v_add_f64 v[118:119], v[30:31], v[50:51]
	s_mov_b32 s26, 0x910ea3b9
	s_mov_b32 s27, 0xbfeb34fa
	;; [unrolled: 1-line block ×4, first 2 shown]
	v_fma_f64 v[100:101], v[116:117], s[16:17], -v[108:109]
	v_fma_f64 v[102:103], v[116:117], s[18:19], -v[124:125]
	v_add_f64 v[122:123], v[34:35], v[46:47]
	v_mul_hi_u32 v0, 0xaaaaaaab, v1
	v_add_f64 v[2:3], v[6:7], v[2:3]
	v_add_f64 v[82:83], v[6:7], v[76:77]
	v_add_f64 v[76:77], v[56:57], -v[28:29]
	v_lshrrev_b32_e32 v0, 1, v0
	v_fma_f64 v[104:105], v[126:127], s[18:19], -v[120:121]
	v_fma_f64 v[110:111], v[126:127], s[22:23], -v[130:131]
	v_lshl_add_u32 v0, v0, 1, v0
	v_sub_nc_u32_e32 v0, v1, v0
	v_mul_u32_u24_e32 v0, 0x451, v0
	v_add_f64 v[2:3], v[78:79], v[2:3]
	v_add_f64 v[80:81], v[80:81], v[82:83]
	v_add_f64 v[78:79], v[52:53], -v[32:33]
	v_mul_f64 v[90:91], v[76:77], s[30:31]
	v_mul_f64 v[132:133], v[76:77], s[20:21]
	v_add_f64 v[82:83], v[48:49], -v[36:37]
	v_lshlrev_b32_e32 v163, 3, v0
	v_add_f64 v[2:3], v[100:101], v[2:3]
	v_add_f64 v[80:81], v[102:103], v[80:81]
	v_mul_f64 v[102:103], v[78:79], s[44:45]
	v_mul_f64 v[134:135], v[78:79], s[42:43]
	v_fma_f64 v[100:101], v[112:113], s[4:5], -v[90:91]
	v_fma_f64 v[128:129], v[112:113], s[6:7], -v[132:133]
	v_mul_f64 v[136:137], v[82:83], s[46:47]
	v_add_f64 v[2:3], v[104:105], v[2:3]
	v_add_f64 v[104:105], v[110:111], v[80:81]
	v_add_f64 v[80:81], v[44:45], -v[40:41]
	v_mul_f64 v[110:111], v[82:83], s[24:25]
	v_fma_f64 v[140:141], v[118:119], s[22:23], -v[102:103]
	v_fma_f64 v[142:143], v[118:119], s[26:27], -v[134:135]
	v_fma_f64 v[146:147], v[122:123], s[14:15], -v[136:137]
	v_add_f64 v[2:3], v[100:101], v[2:3]
	v_add_f64 v[100:101], v[128:129], v[104:105]
	;; [unrolled: 1-line block ×3, first 2 shown]
	v_mul_f64 v[104:105], v[80:81], s[42:43]
	v_mul_f64 v[138:139], v[80:81], s[30:31]
	v_fma_f64 v[144:145], v[122:123], s[10:11], -v[110:111]
	v_add_f64 v[2:3], v[140:141], v[2:3]
	v_add_f64 v[100:101], v[142:143], v[100:101]
	v_fma_f64 v[140:141], v[128:129], s[26:27], -v[104:105]
	v_fma_f64 v[142:143], v[128:129], s[4:5], -v[138:139]
	v_add_f64 v[2:3], v[144:145], v[2:3]
	v_add_f64 v[144:145], v[146:147], v[100:101]
	;; [unrolled: 1-line block ×4, first 2 shown]
	s_and_saveexec_b32 s1, s0
	s_cbranch_execz .LBB0_12
; %bb.11:
	v_add_f64 v[0:1], v[70:71], v[6:7]
	v_mul_f64 v[190:191], v[116:117], s[16:17]
	v_mul_f64 v[208:209], v[84:85], s[6:7]
	;; [unrolled: 1-line block ×13, first 2 shown]
	s_mov_b32 s57, 0xbfe58eea
	s_mov_b32 s56, s30
	;; [unrolled: 1-line block ×6, first 2 shown]
	v_mul_f64 v[218:219], v[106:107], s[14:15]
	v_mul_f64 v[228:229], v[106:107], s[10:11]
	v_add_f64 v[0:1], v[62:63], v[0:1]
	v_add_f64 v[108:109], v[108:109], v[190:191]
	;; [unrolled: 1-line block ×3, first 2 shown]
	v_fma_f64 v[190:191], v[4:5], s[30:31], v[226:227]
	v_fma_f64 v[226:227], v[4:5], s[56:57], v[226:227]
	v_mul_f64 v[142:143], v[122:123], s[14:15]
	v_mul_f64 v[146:147], v[112:113], s[6:7]
	;; [unrolled: 1-line block ×7, first 2 shown]
	v_add_f64 v[138:139], v[138:139], v[140:141]
	v_add_f64 v[134:135], v[134:135], v[144:145]
	;; [unrolled: 1-line block ×5, first 2 shown]
	v_fma_f64 v[140:141], v[4:5], s[36:37], v[156:157]
	v_fma_f64 v[144:145], v[4:5], s[38:39], v[156:157]
	;; [unrolled: 1-line block ×5, first 2 shown]
	v_add_f64 v[0:1], v[58:59], v[0:1]
	v_fma_f64 v[160:161], v[4:5], s[28:29], v[166:167]
	v_fma_f64 v[166:167], v[4:5], s[34:35], v[170:171]
	;; [unrolled: 1-line block ×3, first 2 shown]
	v_mul_f64 v[174:175], v[116:117], s[26:27]
	v_mul_f64 v[176:177], v[116:117], s[10:11]
	v_mul_f64 v[178:179], v[116:117], s[22:23]
	v_mul_f64 v[180:181], v[116:117], s[4:5]
	v_mul_f64 v[182:183], v[126:127], s[4:5]
	v_mul_f64 v[184:185], v[126:127], s[14:15]
	v_mul_f64 v[186:187], v[126:127], s[26:27]
	v_mul_f64 v[188:189], v[126:127], s[6:7]
	v_mul_f64 v[220:221], v[126:127], s[18:19]
	v_mul_f64 v[230:231], v[116:117], s[14:15]
	v_mul_f64 v[232:233], v[126:127], s[16:17]
	v_mul_f64 v[106:107], v[106:107], s[4:5]
	v_mul_f64 v[116:117], v[116:117], s[6:7]
	v_mul_f64 v[126:127], v[126:127], s[10:11]
	v_fma_f64 v[250:251], v[4:5], s[40:41], v[84:85]
	v_fma_f64 v[4:5], v[4:5], s[44:45], v[84:85]
	s_mov_b32 s55, 0x3fefdd0d
	s_mov_b32 s54, s24
	v_add_f64 v[0:1], v[66:67], v[0:1]
	s_mov_b32 s49, 0x3feca52d
	s_mov_b32 s48, s20
	v_add_f64 v[92:93], v[92:93], v[218:219]
	v_fma_f64 v[208:209], v[74:75], s[54:55], v[228:229]
	v_fma_f64 v[228:229], v[74:75], s[24:25], v[228:229]
	v_add_f64 v[86:87], v[6:7], v[86:87]
	v_add_f64 v[190:191], v[6:7], v[190:191]
	;; [unrolled: 1-line block ×6, first 2 shown]
	v_fma_f64 v[142:143], v[74:75], s[44:45], v[158:159]
	v_fma_f64 v[146:147], v[74:75], s[40:41], v[158:159]
	;; [unrolled: 1-line block ×8, first 2 shown]
	v_add_f64 v[140:141], v[6:7], v[140:141]
	v_add_f64 v[144:145], v[6:7], v[144:145]
	;; [unrolled: 1-line block ×8, first 2 shown]
	v_fma_f64 v[234:235], v[88:89], s[50:51], v[174:175]
	v_fma_f64 v[174:175], v[88:89], s[42:43], v[174:175]
	;; [unrolled: 1-line block ×16, first 2 shown]
	v_add_f64 v[0:1], v[50:51], v[0:1]
	v_add_f64 v[120:121], v[120:121], v[220:221]
	v_fma_f64 v[218:219], v[88:89], s[46:47], v[230:231]
	v_fma_f64 v[220:221], v[94:95], s[36:37], v[232:233]
	;; [unrolled: 1-line block ×8, first 2 shown]
	v_add_f64 v[116:117], v[6:7], v[156:157]
	v_fma_f64 v[156:157], v[94:95], s[54:55], v[126:127]
	v_fma_f64 v[94:95], v[94:95], s[24:25], v[126:127]
	v_add_f64 v[126:127], v[6:7], v[160:161]
	v_add_f64 v[4:5], v[6:7], v[4:5]
	;; [unrolled: 1-line block ×14, first 2 shown]
	v_mul_f64 v[222:223], v[112:113], s[4:5]
	v_mul_f64 v[142:143], v[112:113], s[26:27]
	;; [unrolled: 1-line block ×5, first 2 shown]
	v_add_f64 v[116:117], v[158:159], v[116:117]
	v_mul_f64 v[198:199], v[112:113], s[16:17]
	v_mul_f64 v[224:225], v[118:119], s[22:23]
	v_add_f64 v[126:127], v[164:165], v[126:127]
	v_add_f64 v[4:5], v[74:75], v[4:5]
	;; [unrolled: 1-line block ×4, first 2 shown]
	v_mul_f64 v[160:161], v[122:123], s[10:11]
	v_add_f64 v[208:209], v[230:231], v[208:209]
	v_mul_f64 v[112:113], v[112:113], s[18:19]
	v_add_f64 v[140:141], v[234:235], v[140:141]
	v_add_f64 v[144:145], v[174:175], v[144:145]
	;; [unrolled: 1-line block ×8, first 2 shown]
	v_mul_f64 v[146:147], v[118:119], s[18:19]
	v_mul_f64 v[200:201], v[118:119], s[6:7]
	;; [unrolled: 1-line block ×4, first 2 shown]
	v_add_f64 v[116:117], v[238:239], v[116:117]
	v_mul_f64 v[206:207], v[118:119], s[10:11]
	v_mul_f64 v[150:151], v[128:129], s[26:27]
	v_add_f64 v[124:125], v[178:179], v[126:127]
	v_add_f64 v[126:127], v[218:219], v[190:191]
	;; [unrolled: 1-line block ×5, first 2 shown]
	v_fma_f64 v[106:107], v[76:77], s[50:51], v[142:143]
	v_add_f64 v[86:87], v[120:121], v[86:87]
	v_add_f64 v[120:121], v[232:233], v[208:209]
	v_mul_f64 v[118:119], v[118:119], s[14:15]
	v_add_f64 v[0:1], v[38:39], v[0:1]
	v_fma_f64 v[92:93], v[76:77], s[46:47], v[192:193]
	v_fma_f64 v[172:173], v[76:77], s[28:29], v[192:193]
	;; [unrolled: 1-line block ×8, first 2 shown]
	v_add_f64 v[90:91], v[102:103], v[224:225]
	v_add_f64 v[102:103], v[110:111], v[160:161]
	v_fma_f64 v[110:111], v[76:77], s[42:43], v[142:143]
	v_fma_f64 v[142:143], v[76:77], s[34:35], v[112:113]
	;; [unrolled: 1-line block ×3, first 2 shown]
	v_add_f64 v[112:113], v[242:243], v[140:141]
	v_add_f64 v[140:141], v[182:183], v[144:145]
	;; [unrolled: 1-line block ×13, first 2 shown]
	v_mul_f64 v[154:155], v[122:123], s[6:7]
	v_fma_f64 v[94:95], v[78:79], s[34:35], v[146:147]
	v_add_f64 v[86:87], v[88:89], v[86:87]
	v_add_f64 v[88:89], v[106:107], v[120:121]
	v_mul_f64 v[210:211], v[122:123], s[18:19]
	v_mul_f64 v[212:213], v[122:123], s[4:5]
	;; [unrolled: 1-line block ×5, first 2 shown]
	v_fma_f64 v[74:75], v[78:79], s[20:21], v[200:201]
	v_fma_f64 v[200:201], v[78:79], s[48:49], v[200:201]
	;; [unrolled: 1-line block ×8, first 2 shown]
	v_add_f64 v[0:1], v[30:31], v[0:1]
	v_add_f64 v[104:105], v[104:105], v[150:151]
	v_fma_f64 v[130:131], v[78:79], s[52:53], v[146:147]
	v_fma_f64 v[150:151], v[78:79], s[46:47], v[118:119]
	;; [unrolled: 1-line block ×3, first 2 shown]
	v_add_f64 v[118:119], v[192:193], v[144:145]
	v_add_f64 v[144:145], v[198:199], v[152:153]
	;; [unrolled: 1-line block ×12, first 2 shown]
	v_mul_f64 v[114:115], v[128:129], s[22:23]
	v_fma_f64 v[146:147], v[82:83], s[48:49], v[154:155]
	v_add_f64 v[86:87], v[90:91], v[86:87]
	v_add_f64 v[88:89], v[94:95], v[88:89]
	v_mul_f64 v[170:171], v[128:129], s[14:15]
	v_add_f64 v[0:1], v[26:27], v[0:1]
	v_fma_f64 v[176:177], v[82:83], s[34:35], v[210:211]
	v_fma_f64 v[210:211], v[82:83], s[52:53], v[210:211]
	;; [unrolled: 1-line block ×11, first 2 shown]
	v_add_f64 v[122:123], v[206:207], v[144:145]
	v_add_f64 v[90:91], v[134:135], v[96:97]
	v_mul_f64 v[158:159], v[128:129], s[10:11]
	v_mul_f64 v[164:165], v[128:129], s[18:19]
	;; [unrolled: 1-line block ×3, first 2 shown]
	v_add_f64 v[74:75], v[74:75], v[92:93]
	v_add_f64 v[92:93], v[200:201], v[112:113]
	;; [unrolled: 1-line block ×9, first 2 shown]
	v_mul_f64 v[128:129], v[128:129], s[16:17]
	v_add_f64 v[4:5], v[78:79], v[4:5]
	v_add_f64 v[76:77], v[150:151], v[76:77]
	v_fma_f64 v[130:131], v[80:81], s[44:45], v[114:115]
	v_fma_f64 v[114:115], v[80:81], s[40:41], v[114:115]
	v_add_f64 v[86:87], v[102:103], v[86:87]
	v_add_f64 v[88:89], v[146:147], v[88:89]
	v_fma_f64 v[116:117], v[80:81], s[28:29], v[170:171]
	v_add_f64 v[122:123], v[216:217], v[122:123]
	v_add_f64 v[90:91], v[136:137], v[90:91]
	v_fma_f64 v[84:85], v[80:81], s[54:55], v[158:159]
	v_fma_f64 v[124:125], v[80:81], s[52:53], v[164:165]
	;; [unrolled: 1-line block ×4, first 2 shown]
	v_add_f64 v[92:93], v[210:211], v[92:93]
	v_add_f64 v[74:75], v[176:177], v[74:75]
	;; [unrolled: 1-line block ×5, first 2 shown]
	v_fma_f64 v[120:121], v[80:81], s[34:35], v[164:165]
	v_fma_f64 v[126:127], v[80:81], s[20:21], v[166:167]
	v_add_f64 v[112:113], v[180:181], v[112:113]
	v_add_f64 v[96:97], v[108:109], v[96:97]
	v_fma_f64 v[110:111], v[80:81], s[46:47], v[170:171]
	v_add_f64 v[6:7], v[230:231], v[6:7]
	v_add_f64 v[102:103], v[132:133], v[106:107]
	v_fma_f64 v[134:135], v[80:81], s[36:37], v[128:129]
	v_fma_f64 v[80:81], v[80:81], s[38:39], v[128:129]
	v_add_f64 v[4:5], v[82:83], v[4:5]
	v_add_f64 v[76:77], v[142:143], v[76:77]
	;; [unrolled: 1-line block ×17, first 2 shown]
	v_mul_u32_u24_e32 v80, 0x88, v162
	v_add3_u32 v80, 0, v80, v163
	v_add_f64 v[0:1], v[10:11], v[0:1]
	ds_write2_b64 v80, v[88:89], v[86:87] offset0:2 offset1:3
	ds_write2_b64 v80, v[90:91], v[106:107] offset0:4 offset1:5
	;; [unrolled: 1-line block ×7, first 2 shown]
	ds_write2_b64 v80, v[0:1], v[4:5] offset1:1
	ds_write_b64 v80, v[76:77] offset:128
.LBB0_12:
	s_or_b32 exec_lo, exec_lo, s1
	v_add_f64 v[160:161], v[70:71], -v[10:11]
	v_add_f64 v[112:113], v[62:63], -v[14:15]
	v_add_f64 v[102:103], v[12:13], v[72:73]
	v_add_f64 v[116:117], v[58:59], -v[18:19]
	v_add_f64 v[70:71], v[16:17], v[64:65]
	v_add_f64 v[62:63], v[20:21], v[60:61]
	v_add_f64 v[122:123], v[66:67], -v[22:23]
	v_add_f64 v[58:59], v[24:25], v[68:69]
	v_add_f64 v[124:125], v[54:55], -v[26:27]
	;; [unrolled: 2-line block ×4, first 2 shown]
	v_add_f64 v[22:23], v[36:37], v[48:49]
	v_lshlrev_b32_e32 v80, 3, v162
	s_waitcnt lgkmcnt(0)
	s_barrier
	buffer_gl0_inv
	v_add_nc_u32_e32 v171, 0, v80
	v_add3_u32 v165, 0, v163, v80
	v_mul_f64 v[104:105], v[160:161], s[20:21]
	v_mul_f64 v[106:107], v[160:161], s[24:25]
	;; [unrolled: 1-line block ×12, first 2 shown]
	v_add_nc_u32_e32 v164, v171, v163
	v_add_nc_u32_e32 v169, 0x400, v164
	;; [unrolled: 1-line block ×6, first 2 shown]
	v_fma_f64 v[0:1], v[102:103], s[6:7], v[104:105]
	v_fma_f64 v[4:5], v[102:103], s[10:11], v[106:107]
	;; [unrolled: 1-line block ×8, first 2 shown]
	v_add_f64 v[0:1], v[8:9], v[0:1]
	v_add_f64 v[4:5], v[8:9], v[4:5]
	;; [unrolled: 1-line block ×4, first 2 shown]
	v_fma_f64 v[6:7], v[58:59], s[18:19], v[118:119]
	v_fma_f64 v[10:11], v[58:59], s[22:23], v[120:121]
	v_add_f64 v[0:1], v[14:15], v[0:1]
	v_add_f64 v[4:5], v[18:19], v[4:5]
	v_fma_f64 v[14:15], v[54:55], s[4:5], v[126:127]
	v_add_f64 v[18:19], v[42:43], -v[38:39]
	v_mul_f64 v[38:39], v[132:133], s[24:25]
	v_mul_f64 v[42:43], v[132:133], s[46:47]
	v_add_f64 v[0:1], v[6:7], v[0:1]
	v_add_f64 v[4:5], v[10:11], v[4:5]
	v_fma_f64 v[6:7], v[26:27], s[22:23], v[34:35]
	v_mul_f64 v[10:11], v[18:19], s[42:43]
	v_fma_f64 v[74:75], v[22:23], s[10:11], v[38:39]
	v_fma_f64 v[76:77], v[22:23], s[14:15], v[42:43]
	v_add_f64 v[0:1], v[14:15], v[0:1]
	v_add_f64 v[30:31], v[30:31], v[4:5]
	;; [unrolled: 1-line block ×3, first 2 shown]
	v_mul_f64 v[14:15], v[18:19], s[30:31]
	v_add_f64 v[0:1], v[6:7], v[0:1]
	v_add_f64 v[6:7], v[50:51], v[30:31]
	v_fma_f64 v[30:31], v[4:5], s[26:27], v[10:11]
	v_fma_f64 v[78:79], v[4:5], s[4:5], v[14:15]
	v_add_f64 v[50:51], v[74:75], v[0:1]
	v_add_f64 v[6:7], v[76:77], v[6:7]
	ds_read_b64 v[0:1], v165
	ds_read2_b64 v[82:85], v164 offset0:85 offset1:170
	ds_read2_b64 v[94:97], v169 offset0:127 offset1:212
	;; [unrolled: 1-line block ×3, first 2 shown]
	v_add_f64 v[50:51], v[30:31], v[50:51]
	v_add_f64 v[6:7], v[78:79], v[6:7]
	ds_read2_b64 v[74:77], v167 offset0:83 offset1:168
	ds_read2_b64 v[78:81], v168 offset0:125 offset1:210
	;; [unrolled: 1-line block ×3, first 2 shown]
	s_waitcnt lgkmcnt(0)
	s_barrier
	buffer_gl0_inv
	s_and_saveexec_b32 s33, s0
	s_cbranch_execz .LBB0_14
; %bb.13:
	v_add_f64 v[172:173], v[72:73], v[8:9]
	v_mul_f64 v[136:137], v[70:71], s[16:17]
	v_mul_f64 v[138:139], v[62:63], s[16:17]
	;; [unrolled: 1-line block ×4, first 2 shown]
	s_mov_b32 s38, 0x5d8e7cdc
	s_mov_b32 s40, 0x2a9d6da3
	;; [unrolled: 1-line block ×10, first 2 shown]
	v_mul_f64 v[72:73], v[102:103], s[6:7]
	v_mul_f64 v[134:135], v[102:103], s[10:11]
	;; [unrolled: 1-line block ×7, first 2 shown]
	v_add_f64 v[64:65], v[64:65], v[172:173]
	v_mul_f64 v[172:173], v[160:161], s[40:41]
	v_mul_f64 v[176:177], v[160:161], s[18:19]
	;; [unrolled: 1-line block ×6, first 2 shown]
	s_mov_b32 s0, 0x370991
	s_mov_b32 s22, 0x75d4884
	;; [unrolled: 1-line block ×15, first 2 shown]
	v_add_f64 v[60:61], v[60:61], v[64:65]
	v_mul_f64 v[64:65], v[160:161], s[38:39]
	v_mul_f64 v[160:161], v[160:161], s[28:29]
	s_mov_b32 s45, 0x3fe0d888
	s_mov_b32 s47, 0x3feec746
	;; [unrolled: 1-line block ×7, first 2 shown]
	v_mul_f64 v[152:153], v[26:27], s[26:27]
	v_mul_f64 v[180:181], v[112:113], s[40:41]
	;; [unrolled: 1-line block ×5, first 2 shown]
	v_add_f64 v[72:73], v[72:73], -v[104:105]
	v_add_f64 v[104:105], v[134:135], -v[106:107]
	;; [unrolled: 1-line block ×6, first 2 shown]
	v_fma_f64 v[134:135], v[102:103], s[22:23], v[172:173]
	v_add_f64 v[60:61], v[68:69], v[60:61]
	v_mul_f64 v[68:69], v[112:113], s[30:31]
	v_mul_f64 v[112:113], v[112:113], s[36:37]
	v_fma_f64 v[126:127], v[102:103], s[0:1], -v[64:65]
	v_fma_f64 v[138:139], v[102:103], s[6:7], v[174:175]
	v_fma_f64 v[142:143], v[102:103], s[10:11], v[176:177]
	v_fma_f64 v[146:147], v[102:103], s[34:35], v[178:179]
	v_fma_f64 v[64:65], v[102:103], s[0:1], v[64:65]
	v_mul_f64 v[30:31], v[4:5], s[26:27]
	s_mov_b32 s20, 0x3259b75e
	s_mov_b32 s26, 0x2b2883cd
	s_mov_b32 s21, 0x3fb79ee6
	s_mov_b32 s27, 0x3fdc86fa
	s_mov_b32 s49, 0xbfeca52d
	s_mov_b32 s51, 0x3fe58eea
	s_mov_b32 s48, s30
	s_mov_b32 s50, s40
	v_mul_f64 v[184:185], v[116:117], s[18:19]
	v_mul_f64 v[186:187], v[116:117], s[38:39]
	;; [unrolled: 1-line block ×5, first 2 shown]
	v_add_f64 v[56:57], v[56:57], v[60:61]
	v_mul_f64 v[210:211], v[130:131], s[28:29]
	v_mul_f64 v[226:227], v[116:117], s[48:49]
	;; [unrolled: 1-line block ×3, first 2 shown]
	v_add_f64 v[34:35], v[150:151], -v[34:35]
	v_add_f64 v[46:47], v[152:153], -v[46:47]
	;; [unrolled: 1-line block ×4, first 2 shown]
	v_fma_f64 v[150:151], v[70:71], s[22:23], v[180:181]
	v_fma_f64 v[152:153], v[70:71], s[20:21], -v[182:183]
	v_fma_f64 v[154:155], v[70:71], s[20:21], v[182:183]
	v_fma_f64 v[156:157], v[70:71], s[26:27], -v[68:69]
	;; [unrolled: 2-line block ×5, first 2 shown]
	v_add_f64 v[72:73], v[8:9], v[72:73]
	v_add_f64 v[104:105], v[8:9], v[104:105]
	;; [unrolled: 1-line block ×3, first 2 shown]
	s_mov_b32 s53, 0x3fe9895b
	v_add_f64 v[52:53], v[52:53], v[56:57]
	v_add_f64 v[56:57], v[136:137], -v[108:109]
	v_add_f64 v[108:109], v[140:141], -v[114:115]
	;; [unrolled: 1-line block ×4, first 2 shown]
	v_fma_f64 v[128:129], v[102:103], s[22:23], -v[172:173]
	v_fma_f64 v[136:137], v[102:103], s[6:7], -v[174:175]
	;; [unrolled: 1-line block ×5, first 2 shown]
	v_fma_f64 v[70:71], v[70:71], s[0:1], v[112:113]
	v_add_f64 v[112:113], v[8:9], v[126:127]
	s_mov_b32 s52, s18
	v_mul_f64 v[192:193], v[122:123], s[24:25]
	v_mul_f64 v[194:195], v[122:123], s[28:29]
	;; [unrolled: 1-line block ×6, first 2 shown]
	v_fma_f64 v[158:159], v[62:63], s[10:11], -v[184:185]
	v_fma_f64 v[172:173], v[62:63], s[0:1], -v[186:187]
	v_fma_f64 v[174:175], v[62:63], s[0:1], v[186:187]
	v_add_f64 v[48:49], v[48:49], v[52:53]
	v_fma_f64 v[52:53], v[102:103], s[14:15], -v[160:161]
	v_fma_f64 v[102:103], v[102:103], s[14:15], v[160:161]
	v_fma_f64 v[160:161], v[62:63], s[10:11], v[184:185]
	v_fma_f64 v[176:177], v[62:63], s[20:21], -v[188:189]
	v_add_f64 v[126:127], v[8:9], v[128:129]
	v_add_f64 v[128:129], v[8:9], v[136:137]
	;; [unrolled: 1-line block ×4, first 2 shown]
	v_fma_f64 v[178:179], v[62:63], s[20:21], v[188:189]
	v_fma_f64 v[180:181], v[62:63], s[34:35], -v[190:191]
	v_fma_f64 v[182:183], v[62:63], s[34:35], v[190:191]
	v_fma_f64 v[242:243], v[26:27], s[22:23], -v[208:209]
	v_fma_f64 v[144:145], v[26:27], s[14:15], -v[210:211]
	v_add_f64 v[112:113], v[148:149], v[112:113]
	v_add_f64 v[56:57], v[56:57], v[104:105]
	;; [unrolled: 1-line block ×3, first 2 shown]
	s_mov_b32 s25, 0x3fefdd0d
	v_mul_f64 v[198:199], v[124:125], s[16:17]
	v_mul_f64 v[200:201], v[124:125], s[28:29]
	;; [unrolled: 1-line block ×4, first 2 shown]
	v_add_f64 v[44:45], v[44:45], v[48:49]
	v_add_f64 v[52:53], v[8:9], v[52:53]
	v_mul_f64 v[232:233], v[124:125], s[44:45]
	v_mul_f64 v[124:125], v[124:125], s[24:25]
	v_fma_f64 v[184:185], v[58:59], s[20:21], -v[192:193]
	v_fma_f64 v[186:187], v[58:59], s[20:21], v[192:193]
	v_fma_f64 v[188:189], v[58:59], s[14:15], -v[194:195]
	v_fma_f64 v[190:191], v[58:59], s[14:15], v[194:195]
	;; [unrolled: 2-line block ×3, first 2 shown]
	v_mul_f64 v[206:207], v[130:131], s[18:19]
	v_mul_f64 v[212:213], v[130:131], s[30:31]
	v_mul_f64 v[234:235], v[130:131], s[46:47]
	v_mul_f64 v[130:131], v[130:131], s[24:25]
	v_mul_f64 v[60:61], v[132:133], s[42:43]
	v_mul_f64 v[214:215], v[132:133], s[30:31]
	v_mul_f64 v[216:217], v[132:133], s[38:39]
	v_mul_f64 v[218:219], v[132:133], s[28:29]
	v_fma_f64 v[194:195], v[54:55], s[6:7], -v[198:199]
	v_fma_f64 v[196:197], v[54:55], s[6:7], v[198:199]
	v_fma_f64 v[198:199], v[54:55], s[14:15], -v[200:201]
	v_fma_f64 v[200:201], v[54:55], s[14:15], v[200:201]
	v_add_f64 v[40:41], v[40:41], v[44:45]
	v_add_f64 v[44:45], v[8:9], v[134:135]
	;; [unrolled: 1-line block ×6, first 2 shown]
	v_fma_f64 v[102:103], v[26:27], s[22:23], v[208:209]
	v_fma_f64 v[146:147], v[26:27], s[14:15], v[210:211]
	v_fma_f64 v[208:209], v[62:63], s[26:27], -v[226:227]
	v_fma_f64 v[210:211], v[62:63], s[26:27], v[226:227]
	v_fma_f64 v[226:227], v[62:63], s[22:23], -v[116:117]
	v_fma_f64 v[62:63], v[62:63], s[22:23], v[116:117]
	v_add_f64 v[116:117], v[152:153], v[126:127]
	v_add_f64 v[52:53], v[248:249], v[52:53]
	v_fma_f64 v[236:237], v[54:55], s[0:1], -v[202:203]
	v_fma_f64 v[202:203], v[54:55], s[0:1], v[202:203]
	v_fma_f64 v[238:239], v[54:55], s[10:11], -v[204:205]
	v_fma_f64 v[204:205], v[54:55], s[10:11], v[204:205]
	v_mul_f64 v[220:221], v[132:133], s[16:17]
	v_mul_f64 v[132:133], v[132:133], s[50:51]
	v_fma_f64 v[240:241], v[26:27], s[10:11], -v[206:207]
	v_fma_f64 v[206:207], v[26:27], s[10:11], v[206:207]
	v_add_f64 v[36:37], v[36:37], v[40:41]
	v_add_f64 v[40:41], v[154:155], v[44:45]
	;; [unrolled: 1-line block ×10, first 2 shown]
	v_fma_f64 v[134:135], v[58:59], s[26:27], -v[228:229]
	v_fma_f64 v[136:137], v[58:59], s[26:27], v[228:229]
	v_fma_f64 v[138:139], v[58:59], s[10:11], -v[230:231]
	v_fma_f64 v[142:143], v[58:59], s[22:23], -v[122:123]
	v_add_f64 v[112:113], v[208:209], v[112:113]
	v_add_f64 v[116:117], v[158:159], v[116:117]
	;; [unrolled: 1-line block ×3, first 2 shown]
	v_fma_f64 v[140:141], v[58:59], s[10:11], v[230:231]
	v_fma_f64 v[58:59], v[58:59], s[22:23], v[122:123]
	v_add_f64 v[64:65], v[210:211], v[64:65]
	v_fma_f64 v[122:123], v[54:55], s[34:35], -v[232:233]
	v_fma_f64 v[70:71], v[26:27], s[26:27], -v[212:213]
	v_add_f64 v[32:33], v[32:33], v[36:37]
	v_add_f64 v[36:37], v[160:161], v[40:41]
	;; [unrolled: 1-line block ×11, first 2 shown]
	v_fma_f64 v[126:127], v[54:55], s[34:35], v[232:233]
	v_fma_f64 v[128:129], v[54:55], s[20:21], -v[124:125]
	v_fma_f64 v[54:55], v[54:55], s[20:21], v[124:125]
	v_add_f64 v[112:113], v[184:185], v[112:113]
	v_add_f64 v[116:117], v[188:189], v[116:117]
	;; [unrolled: 1-line block ×3, first 2 shown]
	v_fma_f64 v[106:107], v[26:27], s[26:27], v[212:213]
	v_fma_f64 v[124:125], v[26:27], s[20:21], -v[130:131]
	v_add_f64 v[64:65], v[186:187], v[64:65]
	v_fma_f64 v[108:109], v[22:23], s[34:35], -v[60:61]
	v_fma_f64 v[60:61], v[22:23], s[34:35], v[60:61]
	v_add_f64 v[28:29], v[28:29], v[32:33]
	v_add_f64 v[32:33], v[190:191], v[36:37]
	;; [unrolled: 1-line block ×11, first 2 shown]
	v_fma_f64 v[110:111], v[26:27], s[6:7], -v[234:235]
	v_fma_f64 v[114:115], v[26:27], s[6:7], v[234:235]
	v_fma_f64 v[26:27], v[26:27], s[20:21], v[130:131]
	v_add_f64 v[112:113], v[194:195], v[112:113]
	v_add_f64 v[116:117], v[122:123], v[116:117]
	;; [unrolled: 1-line block ×3, first 2 shown]
	v_fma_f64 v[58:59], v[22:23], s[26:27], -v[214:215]
	v_fma_f64 v[72:73], v[22:23], s[26:27], v[214:215]
	v_add_f64 v[64:65], v[196:197], v[64:65]
	v_fma_f64 v[104:105], v[22:23], s[0:1], -v[216:217]
	v_fma_f64 v[122:123], v[22:23], s[6:7], v[220:221]
	v_add_f64 v[24:25], v[24:25], v[28:29]
	v_add_f64 v[28:29], v[126:127], v[32:33]
	;; [unrolled: 1-line block ×11, first 2 shown]
	v_fma_f64 v[126:127], v[22:23], s[22:23], -v[132:133]
	v_fma_f64 v[66:67], v[22:23], s[0:1], v[216:217]
	v_fma_f64 v[68:69], v[22:23], s[14:15], -v[218:219]
	v_add_f64 v[112:113], v[240:241], v[112:113]
	v_add_f64 v[110:111], v[110:111], v[116:117]
	v_fma_f64 v[118:119], v[22:23], s[14:15], v[218:219]
	v_fma_f64 v[120:121], v[22:23], s[6:7], -v[220:221]
	v_fma_f64 v[22:23], v[22:23], s[22:23], v[132:133]
	v_add_f64 v[64:65], v[206:207], v[64:65]
	v_add_f64 v[10:11], v[30:31], -v[10:11]
	v_add_f64 v[20:21], v[20:21], v[24:25]
	v_add_f64 v[24:25], v[114:115], v[28:29]
	;; [unrolled: 1-line block ×10, first 2 shown]
	v_mul_f64 v[52:53], v[18:19], s[28:29]
	v_mul_f64 v[54:55], v[18:19], s[36:37]
	v_add_f64 v[46:47], v[146:147], v[62:63]
	v_mul_f64 v[56:57], v[4:5], s[4:5]
	v_mul_f64 v[62:63], v[18:19], s[18:19]
	v_mul_f64 v[70:71], v[18:19], s[30:31]
	v_mul_f64 v[102:103], v[18:19], s[16:17]
	v_add_f64 v[8:9], v[106:107], v[8:9]
	v_mul_f64 v[18:19], v[18:19], s[24:25]
	v_add_f64 v[106:107], v[108:109], v[112:113]
	v_add_f64 v[58:59], v[58:59], v[110:111]
	;; [unrolled: 1-line block ×13, first 2 shown]
	v_fma_f64 v[42:43], v[4:5], s[14:15], -v[52:53]
	v_fma_f64 v[44:45], v[4:5], s[0:1], -v[54:55]
	v_add_f64 v[22:23], v[22:23], v[46:47]
	v_add_f64 v[14:15], v[56:57], -v[14:15]
	v_fma_f64 v[30:31], v[4:5], s[10:11], -v[62:63]
	v_fma_f64 v[46:47], v[4:5], s[26:27], -v[70:71]
	;; [unrolled: 1-line block ×3, first 2 shown]
	v_add_f64 v[8:9], v[122:123], v[8:9]
	v_fma_f64 v[64:65], v[4:5], s[20:21], -v[18:19]
	v_fma_f64 v[18:19], v[4:5], s[20:21], v[18:19]
	v_fma_f64 v[48:49], v[4:5], s[26:27], v[70:71]
	;; [unrolled: 1-line block ×6, first 2 shown]
	v_add_f64 v[12:13], v[12:13], v[16:17]
	v_add_f64 v[10:11], v[10:11], v[24:25]
	;; [unrolled: 1-line block ×15, first 2 shown]
	v_lshlrev_b32_e32 v26, 7, v162
	v_add3_u32 v26, v171, v26, v163
	ds_write2_b64 v26, v[42:43], v[10:11] offset0:2 offset1:3
	ds_write2_b64 v26, v[12:13], v[16:17] offset1:1
	ds_write2_b64 v26, v[14:15], v[24:25] offset0:4 offset1:5
	ds_write2_b64 v26, v[28:29], v[32:33] offset0:6 offset1:7
	;; [unrolled: 1-line block ×6, first 2 shown]
	ds_write_b64 v26, v[4:5] offset:128
.LBB0_14:
	s_or_b32 exec_lo, exec_lo, s33
	v_and_b32_e32 v4, 0xff, v162
	v_mov_b32_e32 v5, 12
	s_waitcnt lgkmcnt(0)
	s_barrier
	buffer_gl0_inv
	v_mul_lo_u16 v4, 0xf1, v4
	s_mov_b32 s6, 0x4267c47c
	s_mov_b32 s4, 0x42a4c3d2
	s_mov_b32 s10, 0x66966769
	s_mov_b32 s7, 0xbfddbe06
	v_lshrrev_b16 v8, 12, v4
	s_mov_b32 s5, 0xbfea55e2
	s_mov_b32 s11, 0xbfefc445
	;; [unrolled: 1-line block ×4, first 2 shown]
	v_mul_lo_u16 v4, v8, 17
	s_mov_b32 s15, 0xbfedeba7
	s_mov_b32 s17, 0xbfe5384d
	;; [unrolled: 1-line block ×4, first 2 shown]
	v_sub_nc_u16 v12, v162, v4
	s_mov_b32 s26, 0xe00740e9
	s_mov_b32 s28, 0x1ea71119
	;; [unrolled: 1-line block ×4, first 2 shown]
	v_mul_u32_u24_sdwa v4, v12, v5 dst_sel:DWORD dst_unused:UNUSED_PAD src0_sel:BYTE_0 src1_sel:DWORD
	s_mov_b32 s29, 0x3fe22d96
	s_mov_b32 s31, 0x3fbedb7d
	;; [unrolled: 1-line block ×4, first 2 shown]
	v_lshlrev_b32_e32 v4, 4, v4
	s_mov_b32 s21, 0x3fe5384d
	s_mov_b32 s23, 0x3fefc445
	;; [unrolled: 1-line block ×4, first 2 shown]
	s_clause 0xb
	global_load_dwordx4 v[13:16], v4, s[8:9]
	global_load_dwordx4 v[17:20], v4, s[8:9] offset:16
	global_load_dwordx4 v[21:24], v4, s[8:9] offset:32
	;; [unrolled: 1-line block ×11, first 2 shown]
	ds_read2_b64 v[42:45], v164 offset0:85 offset1:170
	ds_read2_b64 v[46:49], v169 offset0:127 offset1:212
	;; [unrolled: 1-line block ×6, first 2 shown]
	s_mov_b32 s20, s16
	s_mov_b32 s22, s10
	;; [unrolled: 1-line block ×12, first 2 shown]
	v_cmp_gt_u32_e64 s0, 51, v162
	s_waitcnt vmcnt(11) lgkmcnt(5)
	v_mul_f64 v[4:5], v[42:43], v[15:16]
	v_mul_f64 v[9:10], v[82:83], v[15:16]
	s_waitcnt vmcnt(10)
	v_mul_f64 v[15:16], v[44:45], v[19:20]
	s_waitcnt vmcnt(9) lgkmcnt(4)
	v_mul_f64 v[56:57], v[46:47], v[23:24]
	s_waitcnt vmcnt(7)
	v_mul_f64 v[62:63], v[48:49], v[31:32]
	v_mul_f64 v[19:20], v[84:85], v[19:20]
	;; [unrolled: 1-line block ×4, first 2 shown]
	s_waitcnt vmcnt(5)
	v_mul_f64 v[132:133], v[90:91], v[54:55]
	s_waitcnt vmcnt(2)
	v_mul_f64 v[140:141], v[80:81], v[60:61]
	s_waitcnt lgkmcnt(3)
	v_mul_f64 v[130:131], v[70:71], v[36:37]
	s_waitcnt lgkmcnt(1)
	v_mul_f64 v[142:143], v[122:123], v[60:61]
	v_mul_f64 v[36:37], v[86:87], v[36:37]
	;; [unrolled: 1-line block ×4, first 2 shown]
	s_waitcnt lgkmcnt(0)
	v_mul_f64 v[54:55], v[124:125], v[54:55]
	v_mul_f64 v[138:139], v[116:117], v[106:107]
	;; [unrolled: 1-line block ×3, first 2 shown]
	s_waitcnt vmcnt(1)
	v_mul_f64 v[144:145], v[120:121], v[110:111]
	v_mul_f64 v[110:111], v[78:79], v[110:111]
	s_waitcnt vmcnt(0)
	v_mul_f64 v[146:147], v[118:119], v[114:115]
	v_mul_f64 v[114:115], v[76:77], v[114:115]
	v_fma_f64 v[68:69], v[82:83], v[13:14], v[4:5]
	v_fma_f64 v[102:103], v[42:43], v[13:14], -v[9:10]
	v_fma_f64 v[64:65], v[84:85], v[17:18], v[15:16]
	v_mul_f64 v[4:5], v[92:93], v[27:28]
	v_fma_f64 v[66:67], v[94:95], v[21:22], v[56:57]
	v_mul_f64 v[27:28], v[126:127], v[27:28]
	v_fma_f64 v[60:61], v[96:97], v[29:30], v[62:63]
	v_fma_f64 v[82:83], v[44:45], v[17:18], -v[19:20]
	v_fma_f64 v[44:45], v[46:47], v[21:22], -v[23:24]
	;; [unrolled: 1-line block ×3, first 2 shown]
	v_fma_f64 v[56:57], v[86:87], v[34:35], v[130:131]
	v_fma_f64 v[40:41], v[70:71], v[34:35], -v[36:37]
	v_fma_f64 v[46:47], v[88:89], v[38:39], v[134:135]
	v_fma_f64 v[38:39], v[72:73], v[38:39], -v[136:137]
	v_fma_f64 v[72:73], v[90:91], v[52:53], v[54:55]
	v_fma_f64 v[70:71], v[80:81], v[58:59], v[142:143]
	;; [unrolled: 1-line block ×4, first 2 shown]
	v_fma_f64 v[30:31], v[120:121], v[108:109], -v[110:111]
	v_fma_f64 v[36:37], v[116:117], v[104:105], -v[106:107]
	;; [unrolled: 1-line block ×3, first 2 shown]
	v_add_f64 v[9:10], v[0:1], v[68:69]
	v_fma_f64 v[32:33], v[126:127], v[25:26], -v[4:5]
	v_fma_f64 v[4:5], v[124:125], v[52:53], -v[132:133]
	v_fma_f64 v[84:85], v[92:93], v[25:26], v[27:28]
	v_fma_f64 v[28:29], v[122:123], v[58:59], -v[140:141]
	v_fma_f64 v[58:59], v[76:77], v[112:113], v[146:147]
	v_and_b32_e32 v27, 0xffff, v8
	v_mad_u32_u24 v27, 0x6e8, v27, 0
	v_add_f64 v[21:22], v[64:65], v[72:73]
	v_add_f64 v[23:24], v[66:67], v[70:71]
	;; [unrolled: 1-line block ×4, first 2 shown]
	v_add_f64 v[48:49], v[42:43], -v[30:31]
	v_add_f64 v[78:79], v[38:39], -v[36:37]
	;; [unrolled: 1-line block ×3, first 2 shown]
	v_add_f64 v[9:10], v[9:10], v[64:65]
	v_add_f64 v[13:14], v[102:103], -v[32:33]
	v_add_f64 v[15:16], v[82:83], -v[4:5]
	v_add_f64 v[17:18], v[68:69], v[84:85]
	v_add_f64 v[19:20], v[44:45], -v[28:29]
	v_add_f64 v[52:53], v[56:57], v[58:59]
	v_mul_f64 v[120:121], v[48:49], s[14:15]
	v_mul_f64 v[122:123], v[48:49], s[20:21]
	;; [unrolled: 1-line block ×3, first 2 shown]
	v_add_f64 v[9:10], v[9:10], v[66:67]
	v_mul_f64 v[126:127], v[48:49], s[10:11]
	v_mul_f64 v[128:129], v[48:49], s[44:45]
	;; [unrolled: 1-line block ×21, first 2 shown]
	v_add_f64 v[9:10], v[9:10], v[60:61]
	v_mul_f64 v[130:131], v[74:75], s[16:17]
	v_mul_f64 v[132:133], v[74:75], s[22:23]
	v_fma_f64 v[150:151], v[17:18], s[26:27], v[80:81]
	v_fma_f64 v[152:153], v[17:18], s[28:29], v[86:87]
	v_fma_f64 v[86:87], v[17:18], s[28:29], -v[86:87]
	v_fma_f64 v[154:155], v[17:18], s[30:31], v[88:89]
	v_fma_f64 v[156:157], v[17:18], s[34:35], v[90:91]
	v_fma_f64 v[90:91], v[17:18], s[34:35], -v[90:91]
	;; [unrolled: 3-line block ×3, first 2 shown]
	v_fma_f64 v[92:93], v[17:18], s[38:39], -v[92:93]
	v_fma_f64 v[88:89], v[17:18], s[30:31], -v[88:89]
	;; [unrolled: 1-line block ×3, first 2 shown]
	v_fma_f64 v[17:18], v[21:22], s[28:29], v[94:95]
	v_fma_f64 v[94:95], v[21:22], s[28:29], -v[94:95]
	v_fma_f64 v[169:170], v[21:22], s[34:35], v[96:97]
	v_fma_f64 v[96:97], v[21:22], s[34:35], -v[96:97]
	;; [unrolled: 2-line block ×3, first 2 shown]
	v_fma_f64 v[173:174], v[21:22], s[38:39], v[106:107]
	v_add_f64 v[9:10], v[9:10], v[56:57]
	v_fma_f64 v[106:107], v[21:22], s[38:39], -v[106:107]
	v_fma_f64 v[175:176], v[21:22], s[30:31], v[108:109]
	v_fma_f64 v[108:109], v[21:22], s[30:31], -v[108:109]
	v_fma_f64 v[177:178], v[21:22], s[26:27], v[15:16]
	;; [unrolled: 2-line block ×8, first 2 shown]
	v_fma_f64 v[19:20], v[23:24], s[38:39], -v[19:20]
	v_add_f64 v[23:24], v[0:1], v[150:151]
	v_add_f64 v[150:151], v[0:1], v[152:153]
	;; [unrolled: 1-line block ×13, first 2 shown]
	v_mul_f64 v[134:135], v[74:75], s[4:5]
	v_fma_f64 v[80:81], v[25:26], s[34:35], v[120:121]
	v_fma_f64 v[160:161], v[25:26], s[38:39], v[122:123]
	v_fma_f64 v[122:123], v[25:26], s[38:39], -v[122:123]
	v_fma_f64 v[189:190], v[25:26], s[26:27], v[124:125]
	v_mul_f64 v[136:137], v[74:75], s[44:45]
	v_mul_f64 v[138:139], v[74:75], s[24:25]
	v_fma_f64 v[191:192], v[25:26], s[30:31], v[126:127]
	v_fma_f64 v[193:194], v[25:26], s[40:41], v[128:129]
	v_add_f64 v[17:18], v[17:18], v[23:24]
	v_add_f64 v[23:24], v[169:170], v[150:151]
	;; [unrolled: 1-line block ×13, first 2 shown]
	v_mul_f64 v[74:75], v[74:75], s[14:15]
	v_fma_f64 v[120:121], v[25:26], s[34:35], -v[120:121]
	v_fma_f64 v[124:125], v[25:26], s[26:27], -v[124:125]
	;; [unrolled: 1-line block ×4, first 2 shown]
	v_fma_f64 v[94:95], v[25:26], s[28:29], v[48:49]
	v_fma_f64 v[25:26], v[25:26], s[28:29], -v[48:49]
	v_mul_f64 v[142:143], v[78:79], s[24:25]
	v_mul_f64 v[144:145], v[78:79], s[16:17]
	v_add_f64 v[17:18], v[21:22], v[17:18]
	v_add_f64 v[21:22], v[179:180], v[23:24]
	;; [unrolled: 1-line block ×13, first 2 shown]
	v_fma_f64 v[48:49], v[52:53], s[38:39], v[130:131]
	v_fma_f64 v[104:105], v[52:53], s[38:39], -v[130:131]
	v_fma_f64 v[108:109], v[52:53], s[30:31], v[132:133]
	v_fma_f64 v[128:129], v[52:53], s[30:31], -v[132:133]
	v_fma_f64 v[130:131], v[52:53], s[28:29], v[134:135]
	v_mul_f64 v[140:141], v[78:79], s[18:19]
	v_mul_f64 v[146:147], v[78:79], s[42:43]
	;; [unrolled: 1-line block ×4, first 2 shown]
	v_add_f64 v[17:18], v[80:81], v[17:18]
	v_add_f64 v[21:22], v[160:161], v[21:22]
	;; [unrolled: 1-line block ×5, first 2 shown]
	v_fma_f64 v[88:89], v[52:53], s[40:41], v[136:137]
	v_fma_f64 v[114:115], v[52:53], s[26:27], v[138:139]
	v_add_f64 v[86:87], v[191:192], v[96:97]
	v_add_f64 v[96:97], v[193:194], v[106:107]
	v_fma_f64 v[132:133], v[52:53], s[28:29], -v[134:135]
	v_fma_f64 v[110:111], v[52:53], s[40:41], -v[136:137]
	;; [unrolled: 1-line block ×3, first 2 shown]
	v_fma_f64 v[118:119], v[52:53], s[34:35], v[74:75]
	v_fma_f64 v[52:53], v[52:53], s[34:35], -v[74:75]
	v_add_f64 v[90:91], v[126:127], v[90:91]
	v_add_f64 v[94:95], v[94:95], v[112:113]
	;; [unrolled: 1-line block ×6, first 2 shown]
	v_fma_f64 v[136:137], v[76:77], s[26:27], v[142:143]
	v_fma_f64 v[25:26], v[76:77], s[26:27], -v[142:143]
	v_fma_f64 v[92:93], v[76:77], s[38:39], v[144:145]
	v_add_f64 v[17:18], v[48:49], v[17:18]
	v_add_f64 v[21:22], v[108:109], v[21:22]
	;; [unrolled: 1-line block ×5, first 2 shown]
	v_fma_f64 v[74:75], v[76:77], s[40:41], v[140:141]
	v_fma_f64 v[134:135], v[76:77], s[40:41], -v[140:141]
	v_fma_f64 v[106:107], v[76:77], s[38:39], -v[144:145]
	v_fma_f64 v[112:113], v[76:77], s[28:29], v[146:147]
	v_fma_f64 v[120:121], v[76:77], s[28:29], -v[146:147]
	v_fma_f64 v[122:123], v[76:77], s[34:35], v[148:149]
	v_fma_f64 v[124:125], v[76:77], s[34:35], -v[148:149]
	v_fma_f64 v[126:127], v[76:77], s[30:31], v[78:79]
	v_fma_f64 v[76:77], v[76:77], s[30:31], -v[78:79]
	v_add_f64 v[78:79], v[88:89], v[86:87]
	v_add_f64 v[86:87], v[114:115], v[96:97]
	;; [unrolled: 1-line block ×13, first 2 shown]
	ds_read_b64 v[74:75], v165
	s_waitcnt lgkmcnt(0)
	s_barrier
	buffer_gl0_inv
	v_add_f64 v[25:26], v[112:113], v[78:79]
	v_add_f64 v[78:79], v[122:123], v[86:87]
	;; [unrolled: 1-line block ×9, first 2 shown]
	v_mov_b32_e32 v52, 3
	v_lshlrev_b32_sdwa v12, v52, v12 dst_sel:DWORD dst_unused:UNUSED_PAD src0_sel:DWORD src1_sel:BYTE_0
	v_add3_u32 v76, v27, v12, v163
	ds_write2_b64 v76, v[21:22], v[23:24] offset0:34 offset1:51
	ds_write2_b64 v76, v[25:26], v[78:79] offset0:68 offset1:85
	;; [unrolled: 1-line block ×5, first 2 shown]
	ds_write_b64 v76, v[0:1] offset:1632
	ds_write2_b64 v76, v[19:20], v[17:18] offset1:17
	s_waitcnt lgkmcnt(0)
	s_barrier
	buffer_gl0_inv
	ds_read2_b64 v[12:15], v164 offset0:85 offset1:221
	ds_read2_b64 v[20:23], v166 offset0:50 offset1:186
	;; [unrolled: 1-line block ×4, first 2 shown]
	ds_read_b64 v[48:49], v165
	ds_read_b64 v[52:53], v164 offset:7752
	s_and_saveexec_b32 s1, s0
	s_cbranch_execz .LBB0_16
; %bb.15:
	v_add_nc_u32_e32 v0, 0x500, v164
	v_add_nc_u32_e32 v1, 0x1300, v164
	ds_read2_b64 v[8:11], v0 offset0:10 offset1:231
	ds_read2_b64 v[0:3], v1 offset0:4 offset1:225
	ds_read_b64 v[100:101], v164 offset:8432
.LBB0_16:
	s_or_b32 exec_lo, exec_lo, s1
	v_add_f64 v[77:78], v[74:75], v[102:103]
	v_add_f64 v[68:69], v[68:69], -v[84:85]
	v_add_f64 v[79:80], v[102:103], v[32:33]
	v_add_f64 v[66:67], v[66:67], -v[70:71]
	;; [unrolled: 2-line block ×3, first 2 shown]
	v_add_f64 v[46:47], v[46:47], -v[54:55]
	v_add_f64 v[60:61], v[60:61], -v[62:63]
	v_add_f64 v[62:63], v[40:41], v[34:35]
	v_add_f64 v[56:57], v[56:57], -v[58:59]
	v_add_f64 v[58:59], v[38:39], v[36:37]
	s_waitcnt lgkmcnt(0)
	s_barrier
	buffer_gl0_inv
	v_add_f64 v[77:78], v[77:78], v[82:83]
	v_add_f64 v[81:82], v[82:83], v[4:5]
	v_add_f64 v[83:84], v[44:45], v[28:29]
	v_mul_f64 v[54:55], v[79:80], s[26:27]
	v_mul_f64 v[72:73], v[79:80], s[28:29]
	;; [unrolled: 1-line block ×19, first 2 shown]
	v_add_f64 v[44:45], v[77:78], v[44:45]
	v_mul_f64 v[77:78], v[79:80], s[30:31]
	v_mul_f64 v[79:80], v[79:80], s[40:41]
	;; [unrolled: 1-line block ×14, first 2 shown]
	v_fma_f64 v[142:143], v[68:69], s[24:25], v[54:55]
	v_fma_f64 v[144:145], v[68:69], s[42:43], v[72:73]
	v_fma_f64 v[72:73], v[68:69], s[4:5], v[72:73]
	v_fma_f64 v[148:149], v[68:69], s[20:21], v[87:88]
	v_fma_f64 v[54:55], v[68:69], s[6:7], v[54:55]
	v_fma_f64 v[87:88], v[68:69], s[16:17], v[87:88]
	v_fma_f64 v[176:177], v[60:61], s[18:19], v[120:121]
	v_add_f64 v[42:43], v[44:45], v[42:43]
	v_fma_f64 v[146:147], v[68:69], s[22:23], v[77:78]
	v_fma_f64 v[77:78], v[68:69], s[10:11], v[77:78]
	;; [unrolled: 1-line block ×18, first 2 shown]
	v_add_f64 v[72:73], v[74:75], v[72:73]
	v_add_f64 v[87:88], v[74:75], v[87:88]
	;; [unrolled: 1-line block ×4, first 2 shown]
	v_fma_f64 v[42:43], v[68:69], s[36:37], v[85:86]
	v_fma_f64 v[85:86], v[68:69], s[14:15], v[85:86]
	;; [unrolled: 1-line block ×8, first 2 shown]
	v_add_f64 v[77:78], v[74:75], v[77:78]
	v_mul_f64 v[44:45], v[70:71], s[30:31]
	v_mul_f64 v[70:71], v[70:71], s[28:29]
	;; [unrolled: 1-line block ×3, first 2 shown]
	v_add_f64 v[72:73], v[91:92], v[72:73]
	v_add_f64 v[38:39], v[40:41], v[38:39]
	v_fma_f64 v[40:41], v[66:67], s[18:19], v[106:107]
	v_fma_f64 v[106:107], v[66:67], s[14:15], v[108:109]
	;; [unrolled: 1-line block ×4, first 2 shown]
	v_add_f64 v[83:84], v[74:75], v[142:143]
	v_add_f64 v[142:143], v[74:75], v[144:145]
	;; [unrolled: 1-line block ×10, first 2 shown]
	v_fma_f64 v[74:75], v[60:61], s[14:15], v[114:115]
	v_fma_f64 v[150:151], v[60:61], s[6:7], v[118:119]
	;; [unrolled: 1-line block ×7, first 2 shown]
	v_add_f64 v[36:37], v[38:39], v[36:37]
	v_fma_f64 v[38:39], v[60:61], s[36:37], v[114:115]
	v_fma_f64 v[114:115], v[60:61], s[16:17], v[116:117]
	;; [unrolled: 1-line block ×3, first 2 shown]
	v_add_f64 v[40:41], v[40:41], v[72:73]
	v_add_f64 v[79:80], v[79:80], v[83:84]
	;; [unrolled: 1-line block ×10, first 2 shown]
	v_fma_f64 v[87:88], v[60:61], s[4:5], v[70:71]
	v_add_f64 v[54:55], v[104:105], v[54:55]
	v_fma_f64 v[102:103], v[56:57], s[22:23], v[124:125]
	v_fma_f64 v[104:105], v[56:57], s[24:25], v[130:131]
	v_add_f64 v[34:35], v[36:37], v[34:35]
	v_fma_f64 v[36:37], v[60:61], s[44:45], v[120:121]
	v_fma_f64 v[60:61], v[60:61], s[42:43], v[70:71]
	;; [unrolled: 1-line block ×4, first 2 shown]
	v_add_f64 v[79:80], v[81:82], v[79:80]
	v_add_f64 v[81:82], v[166:167], v[83:84]
	;; [unrolled: 1-line block ×11, first 2 shown]
	v_fma_f64 v[77:78], v[56:57], s[44:45], v[128:129]
	v_fma_f64 v[95:96], v[56:57], s[6:7], v[130:131]
	;; [unrolled: 1-line block ×4, first 2 shown]
	v_add_f64 v[54:55], v[74:75], v[54:55]
	v_fma_f64 v[108:109], v[46:47], s[18:19], v[132:133]
	v_add_f64 v[30:31], v[34:35], v[30:31]
	v_fma_f64 v[34:35], v[56:57], s[18:19], v[128:129]
	v_fma_f64 v[56:57], v[56:57], s[14:15], v[62:63]
	;; [unrolled: 1-line block ×4, first 2 shown]
	v_add_f64 v[38:39], v[38:39], v[79:80]
	v_add_f64 v[79:80], v[114:115], v[81:82]
	;; [unrolled: 1-line block ×10, first 2 shown]
	v_fma_f64 v[66:67], v[46:47], s[20:21], v[136:137]
	v_fma_f64 v[68:69], v[46:47], s[16:17], v[136:137]
	;; [unrolled: 1-line block ×7, first 2 shown]
	v_add_f64 v[28:29], v[30:31], v[28:29]
	v_fma_f64 v[30:31], v[46:47], s[24:25], v[134:135]
	v_fma_f64 v[46:47], v[46:47], s[22:23], v[58:59]
	v_add_f64 v[40:41], v[102:103], v[40:41]
	v_add_f64 v[54:55], v[89:90], v[54:55]
	v_add_f64 v[38:39], v[70:71], v[38:39]
	v_add_f64 v[58:59], v[93:94], v[79:80]
	v_add_f64 v[70:71], v[120:121], v[72:73]
	v_add_f64 v[34:35], v[34:35], v[42:43]
	v_add_f64 v[42:43], v[77:78], v[44:45]
	v_add_f64 v[44:45], v[95:96], v[81:82]
	v_add_f64 v[72:73], v[106:107], v[83:84]
	v_add_f64 v[56:57], v[56:57], v[60:61]
	v_add_f64 v[36:37], v[104:105], v[36:37]
	v_add_f64 v[60:61], v[122:123], v[64:65]
	v_add_f64 v[64:65], v[28:29], v[4:5]
	v_add_f64 v[30:31], v[30:31], v[40:41]
	v_add_f64 v[4:5], v[108:109], v[54:55]
	v_add_f64 v[38:39], v[62:63], v[38:39]
	v_add_f64 v[58:59], v[110:111], v[58:59]
	v_add_f64 v[40:41], v[66:67], v[70:71]
	v_add_f64 v[34:35], v[74:75], v[34:35]
	v_add_f64 v[42:43], v[85:86], v[42:43]
	v_add_f64 v[44:45], v[87:88], v[44:45]
	v_add_f64 v[62:63], v[112:113], v[72:73]
	v_add_f64 v[46:47], v[46:47], v[56:57]
	v_add_f64 v[36:37], v[91:92], v[36:37]
	v_add_f64 v[28:29], v[68:69], v[60:61]
	v_add_nc_u32_e32 v54, 0x800, v164
	v_add_nc_u32_e32 v55, 0x1000, v164
	;; [unrolled: 1-line block ×3, first 2 shown]
	v_add_f64 v[32:33], v[64:65], v[32:33]
	ds_write2_b64 v76, v[58:59], v[40:41] offset0:34 offset1:51
	ds_write2_b64 v76, v[34:35], v[44:45] offset0:68 offset1:85
	;; [unrolled: 1-line block ×5, first 2 shown]
	ds_write_b64 v76, v[4:5] offset:1632
	ds_write2_b64 v76, v[32:33], v[38:39] offset1:17
	s_waitcnt lgkmcnt(0)
	s_barrier
	buffer_gl0_inv
	ds_read2_b64 v[32:35], v164 offset0:85 offset1:221
	ds_read2_b64 v[44:47], v54 offset0:50 offset1:186
	;; [unrolled: 1-line block ×4, first 2 shown]
	ds_read_b64 v[56:57], v165
	ds_read_b64 v[58:59], v164 offset:7752
	s_and_saveexec_b32 s1, s0
	s_cbranch_execz .LBB0_18
; %bb.17:
	v_add_nc_u32_e32 v4, 0x500, v164
	v_add_nc_u32_e32 v5, 0x1300, v164
	ds_read2_b64 v[28:31], v4 offset0:10 offset1:231
	ds_read2_b64 v[4:7], v5 offset0:4 offset1:225
	ds_read_b64 v[50:51], v164 offset:8432
.LBB0_18:
	s_or_b32 exec_lo, exec_lo, s1
	s_and_saveexec_b32 s1, vcc_lo
	s_cbranch_execz .LBB0_21
; %bb.19:
	v_add_nc_u32_e32 v111, 0x55, v162
	v_mov_b32_e32 v55, 0
	v_mad_u64_u32 v[94:95], null, s2, v162, 0
	v_add_nc_u32_e32 v108, 0xdd, v162
	v_lshlrev_b32_e32 v54, 2, v111
	v_add_nc_u32_e32 v109, 0x1ba, v162
	v_add_nc_u32_e32 v112, 0x374, v162
	v_mul_hi_u32 v113, 0x288b0129, v111
	v_mad_u64_u32 v[96:97], null, s2, v108, 0
	v_lshlrev_b64 v[60:61], 4, v[54:55]
	v_lshlrev_b32_e32 v54, 2, v162
	v_mad_u64_u32 v[102:103], null, s2, v109, 0
	v_add_nc_u32_e32 v110, 0x297, v162
	v_mad_u64_u32 v[106:107], null, s2, v112, 0
	v_add_co_u32 v62, vcc_lo, s8, v60
	v_add_co_ci_u32_e32 v63, vcc_lo, s9, v61, vcc_lo
	v_lshlrev_b64 v[60:61], 4, v[54:55]
	v_add_co_u32 v74, vcc_lo, 0xcc0, v62
	v_add_co_ci_u32_e32 v75, vcc_lo, 0, v63, vcc_lo
	v_add_co_u32 v70, vcc_lo, 0x800, v62
	v_add_co_ci_u32_e32 v71, vcc_lo, 0, v63, vcc_lo
	;; [unrolled: 2-line block ×3, first 2 shown]
	s_clause 0x3
	global_load_dwordx4 v[62:65], v[74:75], off offset:32
	global_load_dwordx4 v[66:69], v[74:75], off offset:16
	global_load_dwordx4 v[70:73], v[70:71], off offset:1216
	global_load_dwordx4 v[74:77], v[74:75], off offset:48
	v_add_co_u32 v60, vcc_lo, 0xcc0, v54
	v_add_co_ci_u32_e32 v61, vcc_lo, 0, v78, vcc_lo
	v_add_co_u32 v82, vcc_lo, 0x800, v54
	v_add_co_ci_u32_e32 v83, vcc_lo, 0, v78, vcc_lo
	s_clause 0x3
	global_load_dwordx4 v[78:81], v[60:61], off offset:16
	global_load_dwordx4 v[82:85], v[82:83], off offset:1216
	;; [unrolled: 1-line block ×4, first 2 shown]
	v_mov_b32_e32 v54, v95
	v_add_co_u32 v60, vcc_lo, s12, v98
	v_mad_u64_u32 v[104:105], null, s2, v110, 0
	v_add_co_ci_u32_e32 v61, vcc_lo, s13, v99, vcc_lo
	v_mad_u64_u32 v[98:99], null, s3, v162, v[54:55]
	v_mov_b32_e32 v54, v97
	v_mov_b32_e32 v95, v103
	v_sub_nc_u32_e32 v103, v111, v113
	v_mov_b32_e32 v99, v107
	v_mov_b32_e32 v97, v105
	v_mad_u64_u32 v[107:108], null, s3, v108, v[54:55]
	v_lshrrev_b32_e32 v54, 1, v103
	v_mad_u64_u32 v[108:109], null, s3, v109, v[95:96]
	v_mad_u64_u32 v[109:110], null, s3, v110, v[97:98]
	v_add_nc_u32_e32 v54, v54, v113
	v_mov_b32_e32 v95, v98
	v_mad_u64_u32 v[98:99], null, s3, v112, v[99:100]
	v_mov_b32_e32 v97, v107
	v_lshrrev_b32_e32 v54, 7, v54
	v_mov_b32_e32 v103, v108
	v_mov_b32_e32 v105, v109
	v_lshlrev_b64 v[94:95], 4, v[94:95]
	v_lshlrev_b64 v[96:97], 4, v[96:97]
	v_mov_b32_e32 v107, v98
	v_mad_u32_u24 v116, 0x374, v54, v111
	v_lshlrev_b64 v[98:99], 4, v[102:103]
	v_lshlrev_b64 v[102:103], 4, v[104:105]
	v_add_co_u32 v94, vcc_lo, v60, v94
	v_lshlrev_b64 v[104:105], 4, v[106:107]
	v_mad_u64_u32 v[106:107], null, s2, v116, 0
	v_add_nc_u32_e32 v118, 0xdd, v116
	v_add_nc_u32_e32 v119, 0x1ba, v116
	;; [unrolled: 1-line block ×4, first 2 shown]
	v_add_co_ci_u32_e32 v95, vcc_lo, v61, v95, vcc_lo
	v_mad_u64_u32 v[108:109], null, s2, v118, 0
	v_mad_u64_u32 v[110:111], null, s2, v119, 0
	;; [unrolled: 1-line block ×3, first 2 shown]
	v_mov_b32_e32 v54, v107
	v_mad_u64_u32 v[114:115], null, s2, v128, 0
	v_add_co_u32 v96, vcc_lo, v60, v96
	v_mad_u64_u32 v[116:117], null, s3, v116, v[54:55]
	v_mov_b32_e32 v54, v109
	v_mov_b32_e32 v107, v111
	;; [unrolled: 1-line block ×4, first 2 shown]
	v_add_co_ci_u32_e32 v97, vcc_lo, v61, v97, vcc_lo
	v_mad_u64_u32 v[117:118], null, s3, v118, v[54:55]
	v_mad_u64_u32 v[118:119], null, s3, v119, v[107:108]
	;; [unrolled: 1-line block ×4, first 2 shown]
	v_mov_b32_e32 v107, v116
	v_mov_b32_e32 v109, v117
	;; [unrolled: 1-line block ×3, first 2 shown]
	v_add_co_u32 v98, vcc_lo, v60, v98
	v_mov_b32_e32 v113, v119
	v_add_co_ci_u32_e32 v99, vcc_lo, v61, v99, vcc_lo
	v_add_co_u32 v102, vcc_lo, v60, v102
	v_add_co_ci_u32_e32 v103, vcc_lo, v61, v103, vcc_lo
	v_add_co_u32 v104, vcc_lo, v60, v104
	v_add_co_ci_u32_e32 v105, vcc_lo, v61, v105, vcc_lo
	v_mov_b32_e32 v115, v128
	s_mov_b32 s14, 0x134454ff
	s_mov_b32 s15, 0x3fee6f0e
	;; [unrolled: 1-line block ×10, first 2 shown]
	s_waitcnt vmcnt(7)
	v_mul_f64 v[124:125], v[16:17], v[64:65]
	s_waitcnt vmcnt(6)
	v_mul_f64 v[120:121], v[24:25], v[68:69]
	;; [unrolled: 2-line block ×4, first 2 shown]
	s_waitcnt lgkmcnt(4)
	v_mul_f64 v[72:73], v[44:45], v[72:73]
	s_waitcnt lgkmcnt(3)
	v_mul_f64 v[68:69], v[36:37], v[68:69]
	s_waitcnt lgkmcnt(2)
	v_mul_f64 v[64:65], v[40:41], v[64:65]
	s_waitcnt lgkmcnt(0)
	v_mul_f64 v[76:77], v[58:59], v[76:77]
	s_waitcnt vmcnt(3)
	v_mul_f64 v[116:117], v[22:23], v[80:81]
	s_waitcnt vmcnt(2)
	v_mul_f64 v[118:119], v[14:15], v[84:85]
	;; [unrolled: 2-line block ×4, first 2 shown]
	v_mul_f64 v[80:81], v[46:47], v[80:81]
	v_mul_f64 v[88:89], v[38:39], v[88:89]
	;; [unrolled: 1-line block ×4, first 2 shown]
	v_fma_f64 v[40:41], v[40:41], v[62:63], -v[124:125]
	v_fma_f64 v[36:37], v[36:37], v[66:67], -v[120:121]
	;; [unrolled: 1-line block ×4, first 2 shown]
	v_fma_f64 v[20:21], v[20:21], v[70:71], v[72:73]
	v_fma_f64 v[24:25], v[24:25], v[66:67], v[68:69]
	;; [unrolled: 1-line block ×4, first 2 shown]
	v_lshlrev_b64 v[68:69], 4, v[112:113]
	v_lshlrev_b64 v[62:63], 4, v[106:107]
	;; [unrolled: 1-line block ×3, first 2 shown]
	v_fma_f64 v[46:47], v[46:47], v[78:79], -v[116:117]
	v_fma_f64 v[34:35], v[34:35], v[82:83], -v[118:119]
	;; [unrolled: 1-line block ×4, first 2 shown]
	v_fma_f64 v[22:23], v[22:23], v[78:79], v[80:81]
	v_fma_f64 v[26:27], v[26:27], v[86:87], v[88:89]
	v_fma_f64 v[14:15], v[14:15], v[82:83], v[84:85]
	v_fma_f64 v[72:73], v[18:19], v[90:91], v[92:93]
	v_add_co_u32 v74, vcc_lo, v60, v62
	v_add_co_ci_u32_e32 v75, vcc_lo, v61, v63, vcc_lo
	v_add_f64 v[86:87], v[36:37], v[40:41]
	v_add_f64 v[18:19], v[36:37], -v[44:45]
	v_add_f64 v[78:79], v[44:45], v[58:59]
	v_add_f64 v[62:63], v[40:41], -v[58:59]
	v_add_f64 v[88:89], v[32:33], v[44:45]
	v_add_f64 v[118:119], v[24:25], v[16:17]
	;; [unrolled: 1-line block ×3, first 2 shown]
	v_add_f64 v[80:81], v[20:21], -v[52:53]
	v_add_f64 v[90:91], v[24:25], -v[20:21]
	;; [unrolled: 1-line block ×3, first 2 shown]
	v_add_f64 v[20:21], v[12:13], v[20:21]
	v_add_f64 v[136:137], v[56:57], v[34:35]
	;; [unrolled: 1-line block ×4, first 2 shown]
	v_add_f64 v[76:77], v[24:25], -v[16:17]
	v_add_f64 v[120:121], v[22:23], v[26:27]
	v_add_f64 v[142:143], v[48:49], v[14:15]
	;; [unrolled: 1-line block ×3, first 2 shown]
	v_add_f64 v[82:83], v[44:45], -v[36:37]
	v_add_f64 v[84:85], v[58:59], -v[40:41]
	;; [unrolled: 1-line block ×6, first 2 shown]
	v_fma_f64 v[78:79], v[78:79], -0.5, v[32:33]
	v_add_f64 v[34:35], v[34:35], -v[42:43]
	v_lshlrev_b64 v[70:71], 4, v[114:115]
	v_add_f64 v[114:115], v[52:53], -v[16:17]
	v_add_f64 v[126:127], v[38:39], -v[42:43]
	;; [unrolled: 1-line block ×3, first 2 shown]
	v_fma_f64 v[32:33], v[86:87], -0.5, v[32:33]
	v_add_f64 v[86:87], v[46:47], -v[38:39]
	v_lshlrev_b64 v[64:65], 4, v[108:109]
	v_add_f64 v[44:45], v[44:45], -v[58:59]
	v_add_f64 v[108:109], v[36:37], -v[40:41]
	v_fma_f64 v[112:113], v[112:113], -0.5, v[56:57]
	v_fma_f64 v[56:57], v[116:117], -0.5, v[56:57]
	;; [unrolled: 1-line block ×6, first 2 shown]
	v_add_f64 v[138:139], v[22:23], -v[14:15]
	v_add_f64 v[14:15], v[14:15], -v[22:23]
	;; [unrolled: 1-line block ×3, first 2 shown]
	v_add_f64 v[62:63], v[18:19], v[62:63]
	v_add_f64 v[18:19], v[36:37], v[88:89]
	;; [unrolled: 1-line block ×5, first 2 shown]
	v_add_f64 v[134:135], v[42:43], -v[38:39]
	v_add_f64 v[82:83], v[82:83], v[84:85]
	v_add_f64 v[84:85], v[90:91], v[92:93]
	v_fma_f64 v[90:91], v[76:77], s[14:15], v[78:79]
	v_fma_f64 v[78:79], v[76:77], s[16:17], v[78:79]
	v_add_f64 v[140:141], v[26:27], -v[72:73]
	v_add_f64 v[88:89], v[110:111], v[114:115]
	v_add_f64 v[24:25], v[124:125], v[126:127]
	v_fma_f64 v[92:93], v[80:81], s[16:17], v[32:33]
	v_fma_f64 v[118:119], v[130:131], s[16:17], v[56:57]
	v_fma_f64 v[56:57], v[130:131], s[14:15], v[56:57]
	v_fma_f64 v[122:123], v[34:35], s[16:17], v[120:121]
	v_fma_f64 v[114:115], v[128:129], s[14:15], v[112:113]
	v_fma_f64 v[112:113], v[128:129], s[16:17], v[112:113]
	v_fma_f64 v[124:125], v[86:87], s[14:15], v[48:49]
	v_fma_f64 v[48:49], v[86:87], s[16:17], v[48:49]
	v_fma_f64 v[120:121], v[34:35], s[14:15], v[120:121]
	v_fma_f64 v[32:33], v[80:81], s[14:15], v[32:33]
	v_fma_f64 v[110:111], v[108:109], s[16:17], v[106:107]
	v_fma_f64 v[106:107], v[108:109], s[14:15], v[106:107]
	v_fma_f64 v[126:127], v[44:45], s[16:17], v[12:13]
	v_fma_f64 v[12:13], v[44:45], s[14:15], v[12:13]
	v_add_f64 v[116:117], v[14:15], v[116:117]
	v_add_f64 v[14:15], v[40:41], v[18:19]
	;; [unrolled: 1-line block ×6, first 2 shown]
	v_fma_f64 v[22:23], v[80:81], s[6:7], v[90:91]
	v_fma_f64 v[26:27], v[80:81], s[10:11], v[78:79]
	v_add_f64 v[132:133], v[138:139], v[140:141]
	v_fma_f64 v[38:39], v[76:77], s[6:7], v[92:93]
	v_fma_f64 v[56:57], v[128:129], s[10:11], v[56:57]
	;; [unrolled: 1-line block ×14, first 2 shown]
	v_add_f64 v[14:15], v[14:15], v[58:59]
	v_add_f64 v[12:13], v[16:17], v[52:53]
	;; [unrolled: 1-line block ×4, first 2 shown]
	v_add_co_u32 v110, vcc_lo, v60, v64
	v_add_co_ci_u32_e32 v111, vcc_lo, v61, v65, vcc_lo
	v_fma_f64 v[34:35], v[82:83], s[4:5], v[38:39]
	v_fma_f64 v[58:59], v[36:37], s[4:5], v[56:57]
	;; [unrolled: 1-line block ×16, first 2 shown]
	v_add_co_u32 v48, vcc_lo, v60, v66
	v_add_co_ci_u32_e32 v49, vcc_lo, v61, v67, vcc_lo
	v_add_co_u32 v52, vcc_lo, v60, v68
	v_add_co_ci_u32_e32 v53, vcc_lo, v61, v69, vcc_lo
	;; [unrolled: 2-line block ×3, first 2 shown]
	global_store_dwordx4 v[94:95], v[16:19], off
	global_store_dwordx4 v[96:97], v[56:59], off
	;; [unrolled: 1-line block ×10, first 2 shown]
	s_and_b32 exec_lo, exec_lo, s0
	s_cbranch_execz .LBB0_21
; %bb.20:
	v_add_nc_u32_e32 v48, 0xaa, v162
	v_subrev_nc_u32_e32 v12, 51, v162
	v_add_nc_u32_e32 v59, 0x187, v162
	v_add_nc_u32_e32 v70, 0x264, v162
	;; [unrolled: 1-line block ×4, first 2 shown]
	v_cndmask_b32_e64 v12, v12, v48, s0
	v_lshlrev_b32_e32 v54, 2, v12
	v_lshlrev_b64 v[12:13], 4, v[54:55]
	v_add_co_u32 v12, vcc_lo, s8, v12
	v_add_co_ci_u32_e32 v13, vcc_lo, s9, v13, vcc_lo
	v_add_co_u32 v24, vcc_lo, 0xcc0, v12
	v_add_co_ci_u32_e32 v25, vcc_lo, 0, v13, vcc_lo
	;; [unrolled: 2-line block ×3, first 2 shown]
	s_clause 0x3
	global_load_dwordx4 v[12:15], v[24:25], off offset:16
	global_load_dwordx4 v[16:19], v[24:25], off offset:32
	;; [unrolled: 1-line block ×4, first 2 shown]
	s_waitcnt vmcnt(3)
	v_mul_f64 v[32:33], v[4:5], v[14:15]
	s_waitcnt vmcnt(2)
	v_mul_f64 v[34:35], v[6:7], v[18:19]
	;; [unrolled: 2-line block ×4, first 2 shown]
	v_mul_f64 v[14:15], v[0:1], v[14:15]
	v_mul_f64 v[18:19], v[2:3], v[18:19]
	;; [unrolled: 1-line block ×4, first 2 shown]
	v_fma_f64 v[0:1], v[0:1], v[12:13], v[32:33]
	v_fma_f64 v[2:3], v[2:3], v[16:17], v[34:35]
	;; [unrolled: 1-line block ×4, first 2 shown]
	v_fma_f64 v[4:5], v[4:5], v[12:13], -v[14:15]
	v_fma_f64 v[6:7], v[6:7], v[16:17], -v[18:19]
	;; [unrolled: 1-line block ×4, first 2 shown]
	v_mad_u64_u32 v[24:25], null, s2, v48, 0
	v_mad_u64_u32 v[26:27], null, s2, v59, 0
	;; [unrolled: 1-line block ×6, first 2 shown]
	v_add_f64 v[16:17], v[0:1], v[2:3]
	v_add_f64 v[38:39], v[8:9], v[10:11]
	;; [unrolled: 1-line block ×3, first 2 shown]
	v_add_f64 v[46:47], v[0:1], -v[2:3]
	v_add_f64 v[20:21], v[4:5], v[6:7]
	v_add_f64 v[42:43], v[28:29], v[12:13]
	;; [unrolled: 1-line block ×3, first 2 shown]
	v_add_f64 v[40:41], v[12:13], -v[14:15]
	v_add_f64 v[44:45], v[4:5], -v[6:7]
	v_add_f64 v[49:50], v[10:11], -v[0:1]
	v_add_f64 v[55:56], v[12:13], -v[4:5]
	v_add_f64 v[12:13], v[4:5], -v[12:13]
	v_add_f64 v[51:52], v[32:33], -v[2:3]
	v_add_f64 v[57:58], v[14:15], -v[6:7]
	v_add_f64 v[53:54], v[2:3], -v[32:33]
	v_add_f64 v[62:63], v[6:7], -v[14:15]
	v_mov_b32_e32 v25, v48
	v_fma_f64 v[16:17], v[16:17], -0.5, v[8:9]
	v_fma_f64 v[8:9], v[18:19], -0.5, v[8:9]
	v_add_f64 v[18:19], v[10:11], -v[32:33]
	v_fma_f64 v[20:21], v[20:21], -0.5, v[28:29]
	v_add_f64 v[10:11], v[0:1], -v[10:11]
	v_fma_f64 v[22:23], v[22:23], -0.5, v[28:29]
	v_add_f64 v[0:1], v[38:39], v[0:1]
	v_add_f64 v[4:5], v[42:43], v[4:5]
	v_mov_b32_e32 v28, v31
	v_mov_b32_e32 v31, v37
	;; [unrolled: 1-line block ×3, first 2 shown]
	v_add_f64 v[49:50], v[49:50], v[51:52]
	v_add_f64 v[51:52], v[55:56], v[57:58]
	v_mad_u64_u32 v[68:69], null, s3, v59, v[27:28]
	v_mad_u64_u32 v[69:70], null, s3, v70, v[28:29]
	;; [unrolled: 1-line block ×4, first 2 shown]
	v_fma_f64 v[37:38], v[40:41], s[16:17], v[16:17]
	v_fma_f64 v[16:17], v[40:41], s[14:15], v[16:17]
	;; [unrolled: 1-line block ×8, first 2 shown]
	v_add_f64 v[0:1], v[0:1], v[2:3]
	v_add_f64 v[2:3], v[4:5], v[6:7]
	;; [unrolled: 1-line block ×4, first 2 shown]
	v_mov_b32_e32 v27, v68
	v_mov_b32_e32 v31, v69
	;; [unrolled: 1-line block ×3, first 2 shown]
	v_lshlrev_b64 v[28:29], 4, v[34:35]
	v_fma_f64 v[4:5], v[44:45], s[6:7], v[37:38]
	v_fma_f64 v[6:7], v[44:45], s[10:11], v[16:17]
	;; [unrolled: 1-line block ×8, first 2 shown]
	v_add_f64 v[0:1], v[0:1], v[32:33]
	v_add_f64 v[2:3], v[2:3], v[14:15]
	v_lshlrev_b64 v[22:23], 4, v[24:25]
	v_lshlrev_b64 v[24:25], 4, v[26:27]
	;; [unrolled: 1-line block ×3, first 2 shown]
	v_mov_b32_e32 v37, v70
	v_lshlrev_b64 v[30:31], 4, v[36:37]
	v_fma_f64 v[4:5], v[49:50], s[4:5], v[4:5]
	v_fma_f64 v[8:9], v[49:50], s[4:5], v[6:7]
	;; [unrolled: 1-line block ×8, first 2 shown]
	v_add_co_u32 v20, vcc_lo, v60, v22
	v_add_co_ci_u32_e32 v21, vcc_lo, v61, v23, vcc_lo
	v_add_co_u32 v22, vcc_lo, v60, v24
	v_add_co_ci_u32_e32 v23, vcc_lo, v61, v25, vcc_lo
	;; [unrolled: 2-line block ×5, first 2 shown]
	global_store_dwordx4 v[20:21], v[0:3], off
	global_store_dwordx4 v[22:23], v[4:7], off
	;; [unrolled: 1-line block ×5, first 2 shown]
.LBB0_21:
	s_endpgm
	.section	.rodata,"a",@progbits
	.p2align	6, 0x0
	.amdhsa_kernel fft_rtc_back_len1105_factors_17_13_5_wgs_255_tpt_85_halfLds_dp_ip_CI_sbrr_dirReg
		.amdhsa_group_segment_fixed_size 0
		.amdhsa_private_segment_fixed_size 0
		.amdhsa_kernarg_size 88
		.amdhsa_user_sgpr_count 6
		.amdhsa_user_sgpr_private_segment_buffer 1
		.amdhsa_user_sgpr_dispatch_ptr 0
		.amdhsa_user_sgpr_queue_ptr 0
		.amdhsa_user_sgpr_kernarg_segment_ptr 1
		.amdhsa_user_sgpr_dispatch_id 0
		.amdhsa_user_sgpr_flat_scratch_init 0
		.amdhsa_user_sgpr_private_segment_size 0
		.amdhsa_wavefront_size32 1
		.amdhsa_uses_dynamic_stack 0
		.amdhsa_system_sgpr_private_segment_wavefront_offset 0
		.amdhsa_system_sgpr_workgroup_id_x 1
		.amdhsa_system_sgpr_workgroup_id_y 0
		.amdhsa_system_sgpr_workgroup_id_z 0
		.amdhsa_system_sgpr_workgroup_info 0
		.amdhsa_system_vgpr_workitem_id 0
		.amdhsa_next_free_vgpr 252
		.amdhsa_next_free_sgpr 58
		.amdhsa_reserve_vcc 1
		.amdhsa_reserve_flat_scratch 0
		.amdhsa_float_round_mode_32 0
		.amdhsa_float_round_mode_16_64 0
		.amdhsa_float_denorm_mode_32 3
		.amdhsa_float_denorm_mode_16_64 3
		.amdhsa_dx10_clamp 1
		.amdhsa_ieee_mode 1
		.amdhsa_fp16_overflow 0
		.amdhsa_workgroup_processor_mode 1
		.amdhsa_memory_ordered 1
		.amdhsa_forward_progress 0
		.amdhsa_shared_vgpr_count 0
		.amdhsa_exception_fp_ieee_invalid_op 0
		.amdhsa_exception_fp_denorm_src 0
		.amdhsa_exception_fp_ieee_div_zero 0
		.amdhsa_exception_fp_ieee_overflow 0
		.amdhsa_exception_fp_ieee_underflow 0
		.amdhsa_exception_fp_ieee_inexact 0
		.amdhsa_exception_int_div_zero 0
	.end_amdhsa_kernel
	.text
.Lfunc_end0:
	.size	fft_rtc_back_len1105_factors_17_13_5_wgs_255_tpt_85_halfLds_dp_ip_CI_sbrr_dirReg, .Lfunc_end0-fft_rtc_back_len1105_factors_17_13_5_wgs_255_tpt_85_halfLds_dp_ip_CI_sbrr_dirReg
                                        ; -- End function
	.section	.AMDGPU.csdata,"",@progbits
; Kernel info:
; codeLenInByte = 16984
; NumSgprs: 60
; NumVgprs: 252
; ScratchSize: 0
; MemoryBound: 1
; FloatMode: 240
; IeeeMode: 1
; LDSByteSize: 0 bytes/workgroup (compile time only)
; SGPRBlocks: 7
; VGPRBlocks: 31
; NumSGPRsForWavesPerEU: 60
; NumVGPRsForWavesPerEU: 252
; Occupancy: 4
; WaveLimiterHint : 1
; COMPUTE_PGM_RSRC2:SCRATCH_EN: 0
; COMPUTE_PGM_RSRC2:USER_SGPR: 6
; COMPUTE_PGM_RSRC2:TRAP_HANDLER: 0
; COMPUTE_PGM_RSRC2:TGID_X_EN: 1
; COMPUTE_PGM_RSRC2:TGID_Y_EN: 0
; COMPUTE_PGM_RSRC2:TGID_Z_EN: 0
; COMPUTE_PGM_RSRC2:TIDIG_COMP_CNT: 0
	.text
	.p2alignl 6, 3214868480
	.fill 48, 4, 3214868480
	.type	__hip_cuid_36ead059e852e4bc,@object ; @__hip_cuid_36ead059e852e4bc
	.section	.bss,"aw",@nobits
	.globl	__hip_cuid_36ead059e852e4bc
__hip_cuid_36ead059e852e4bc:
	.byte	0                               ; 0x0
	.size	__hip_cuid_36ead059e852e4bc, 1

	.ident	"AMD clang version 19.0.0git (https://github.com/RadeonOpenCompute/llvm-project roc-6.4.0 25133 c7fe45cf4b819c5991fe208aaa96edf142730f1d)"
	.section	".note.GNU-stack","",@progbits
	.addrsig
	.addrsig_sym __hip_cuid_36ead059e852e4bc
	.amdgpu_metadata
---
amdhsa.kernels:
  - .args:
      - .actual_access:  read_only
        .address_space:  global
        .offset:         0
        .size:           8
        .value_kind:     global_buffer
      - .offset:         8
        .size:           8
        .value_kind:     by_value
      - .actual_access:  read_only
        .address_space:  global
        .offset:         16
        .size:           8
        .value_kind:     global_buffer
      - .actual_access:  read_only
        .address_space:  global
        .offset:         24
        .size:           8
        .value_kind:     global_buffer
      - .offset:         32
        .size:           8
        .value_kind:     by_value
      - .actual_access:  read_only
        .address_space:  global
        .offset:         40
        .size:           8
        .value_kind:     global_buffer
      - .actual_access:  read_only
        .address_space:  global
        .offset:         48
        .size:           8
        .value_kind:     global_buffer
      - .offset:         56
        .size:           4
        .value_kind:     by_value
      - .actual_access:  read_only
        .address_space:  global
        .offset:         64
        .size:           8
        .value_kind:     global_buffer
      - .actual_access:  read_only
        .address_space:  global
        .offset:         72
        .size:           8
        .value_kind:     global_buffer
      - .address_space:  global
        .offset:         80
        .size:           8
        .value_kind:     global_buffer
    .group_segment_fixed_size: 0
    .kernarg_segment_align: 8
    .kernarg_segment_size: 88
    .language:       OpenCL C
    .language_version:
      - 2
      - 0
    .max_flat_workgroup_size: 255
    .name:           fft_rtc_back_len1105_factors_17_13_5_wgs_255_tpt_85_halfLds_dp_ip_CI_sbrr_dirReg
    .private_segment_fixed_size: 0
    .sgpr_count:     60
    .sgpr_spill_count: 0
    .symbol:         fft_rtc_back_len1105_factors_17_13_5_wgs_255_tpt_85_halfLds_dp_ip_CI_sbrr_dirReg.kd
    .uniform_work_group_size: 1
    .uses_dynamic_stack: false
    .vgpr_count:     252
    .vgpr_spill_count: 0
    .wavefront_size: 32
    .workgroup_processor_mode: 1
amdhsa.target:   amdgcn-amd-amdhsa--gfx1030
amdhsa.version:
  - 1
  - 2
...

	.end_amdgpu_metadata
